;; amdgpu-corpus repo=ROCm/rocFFT kind=compiled arch=gfx1201 opt=O3
	.text
	.amdgcn_target "amdgcn-amd-amdhsa--gfx1201"
	.amdhsa_code_object_version 6
	.protected	bluestein_single_back_len605_dim1_dp_op_CI_CI ; -- Begin function bluestein_single_back_len605_dim1_dp_op_CI_CI
	.globl	bluestein_single_back_len605_dim1_dp_op_CI_CI
	.p2align	8
	.type	bluestein_single_back_len605_dim1_dp_op_CI_CI,@function
bluestein_single_back_len605_dim1_dp_op_CI_CI: ; @bluestein_single_back_len605_dim1_dp_op_CI_CI
; %bb.0:
	s_load_b128 s[16:19], s[0:1], 0x28
	v_mul_u32_u24_e32 v1, 0x4a8, v0
	s_mov_b32 s2, exec_lo
	v_mov_b32_e32 v4, 0
	s_delay_alu instid0(VALU_DEP_2) | instskip(NEXT) | instid1(VALU_DEP_1)
	v_lshrrev_b32_e32 v1, 16, v1
	v_add_nc_u32_e32 v3, ttmp9, v1
	s_wait_kmcnt 0x0
	s_delay_alu instid0(VALU_DEP_1)
	v_cmpx_gt_u64_e64 s[16:17], v[3:4]
	s_cbranch_execz .LBB0_10
; %bb.1:
	s_clause 0x1
	s_load_b128 s[4:7], s[0:1], 0x18
	s_load_b128 s[8:11], s[0:1], 0x0
	v_mul_lo_u16 v1, v1, 55
	v_mov_b32_e32 v4, v3
	s_mov_b32 s24, 0xf8bb580b
	s_mov_b32 s25, 0xbfe14ced
	;; [unrolled: 1-line block ×3, first 2 shown]
	v_sub_nc_u16 v72, v0, v1
	scratch_store_b64 off, v[4:5], off offset:180 ; 8-byte Folded Spill
	s_mov_b32 s20, 0x8eee2c13
	s_mov_b32 s22, 0x43842ef
	;; [unrolled: 1-line block ×3, first 2 shown]
	v_and_b32_e32 v30, 0xffff, v72
	s_mov_b32 s26, 0xbb3a28a1
	s_mov_b32 s27, 0xbfe82f19
	;; [unrolled: 1-line block ×7, first 2 shown]
	s_wait_kmcnt 0x0
	s_load_b128 s[12:15], s[4:5], 0x0
	s_mov_b32 s37, 0x3fd207e7
	s_mov_b32 s36, s28
	;; [unrolled: 1-line block ×5, first 2 shown]
	s_load_b64 s[0:1], s[0:1], 0x38
	s_wait_kmcnt 0x0
	v_mad_co_u64_u32 v[8:9], null, s12, v30, 0
	v_mad_co_u64_u32 v[0:1], null, s14, v3, 0
	s_mul_u64 s[2:3], s[12:13], 0x370
	s_delay_alu instid0(VALU_DEP_2) | instskip(NEXT) | instid1(VALU_DEP_1)
	v_mov_b32_e32 v2, v9
	v_mad_co_u64_u32 v[3:4], null, s15, v3, v[1:2]
	s_mov_b32 s14, 0x640f44db
	s_mov_b32 s15, 0xbfc2375f
	s_delay_alu instid0(VALU_DEP_1) | instskip(SKIP_3) | instid1(VALU_DEP_3)
	v_mov_b32_e32 v1, v3
	v_lshlrev_b32_e32 v193, 4, v30
	v_mad_co_u64_u32 v[4:5], null, s13, v30, v[2:3]
	s_mov_b32 s12, 0xd9c712b6
	v_lshlrev_b64_e32 v[10:11], 4, v[0:1]
	s_mov_b32 s13, 0x3fda9628
	s_delay_alu instid0(VALU_DEP_2) | instskip(NEXT) | instid1(VALU_DEP_2)
	v_mov_b32_e32 v9, v4
	v_add_co_u32 v0, vcc_lo, s18, v10
	s_delay_alu instid0(VALU_DEP_3) | instskip(NEXT) | instid1(VALU_DEP_3)
	v_add_co_ci_u32_e32 v1, vcc_lo, s19, v11, vcc_lo
	v_lshlrev_b64_e32 v[16:17], 4, v[8:9]
	s_clause 0x7
	global_load_b128 v[2:5], v193, s[8:9]
	global_load_b128 v[12:15], v193, s[8:9] offset:880
	global_load_b128 v[6:9], v193, s[8:9] offset:1760
	;; [unrolled: 1-line block ×7, first 2 shown]
	s_mov_b32 s18, 0x9bcd5057
	v_add_co_u32 v32, vcc_lo, v0, v16
	s_wait_alu 0xfffd
	v_add_co_ci_u32_e32 v33, vcc_lo, v1, v17, vcc_lo
	s_mov_b32 s19, 0xbfeeb42a
	s_delay_alu instid0(VALU_DEP_2) | instskip(SKIP_1) | instid1(VALU_DEP_2)
	v_add_co_u32 v34, vcc_lo, v32, s2
	s_wait_alu 0xfffd
	v_add_co_ci_u32_e32 v35, vcc_lo, s3, v33, vcc_lo
	s_clause 0x1
	global_load_b128 v[44:47], v[32:33], off
	global_load_b128 v[48:51], v[34:35], off
	v_add_co_u32 v36, vcc_lo, v34, s2
	s_wait_alu 0xfffd
	v_add_co_ci_u32_e32 v37, vcc_lo, s3, v35, vcc_lo
	v_mul_lo_u16 v0, v72, 11
	s_delay_alu instid0(VALU_DEP_3) | instskip(SKIP_1) | instid1(VALU_DEP_3)
	v_add_co_u32 v38, vcc_lo, v36, s2
	s_wait_alu 0xfffd
	v_add_co_ci_u32_e32 v39, vcc_lo, s3, v37, vcc_lo
	s_delay_alu instid0(VALU_DEP_3) | instskip(NEXT) | instid1(VALU_DEP_3)
	v_and_b32_e32 v0, 0xffff, v0
	v_add_co_u32 v32, vcc_lo, v38, s2
	s_wait_alu 0xfffd
	s_delay_alu instid0(VALU_DEP_3)
	v_add_co_ci_u32_e32 v33, vcc_lo, s3, v39, vcc_lo
	s_clause 0x1
	global_load_b128 v[52:55], v[36:37], off
	global_load_b128 v[56:59], v[38:39], off
	v_add_co_u32 v34, vcc_lo, v32, s2
	s_wait_alu 0xfffd
	v_add_co_ci_u32_e32 v35, vcc_lo, s3, v33, vcc_lo
	global_load_b128 v[60:63], v[32:33], off
	v_add_co_u32 v32, vcc_lo, v34, s2
	s_wait_alu 0xfffd
	v_add_co_ci_u32_e32 v33, vcc_lo, s3, v35, vcc_lo
	;; [unrolled: 4-line block ×6, first 2 shown]
	s_clause 0x1
	global_load_b128 v[35:38], v193, s[8:9] offset:7040
	global_load_b128 v[31:34], v193, s[8:9] offset:7920
	global_load_b128 v[81:84], v[40:41], off
	global_load_b128 v[39:42], v193, s[8:9] offset:8800
	global_load_b128 v[85:88], v[85:86], off
	s_load_b128 s[4:7], s[6:7], 0x0
	s_mov_b32 s2, 0x8764f0ba
	s_mov_b32 s3, 0x3feaeb8c
	v_cmp_gt_u16_e32 vcc_lo, 11, v72
	s_wait_loadcnt 0x15
	scratch_store_b128 off, v[2:5], off offset:64 ; 16-byte Folded Spill
	s_wait_loadcnt 0x14
	scratch_store_b128 off, v[12:15], off offset:80 ; 16-byte Folded Spill
	;; [unrolled: 2-line block ×8, first 2 shown]
	s_wait_loadcnt 0xd
	v_mul_f64_e32 v[89:90], v[46:47], v[4:5]
	v_mul_f64_e32 v[91:92], v[44:45], v[4:5]
	s_wait_loadcnt 0xc
	v_mul_f64_e32 v[93:94], v[50:51], v[14:15]
	v_mul_f64_e32 v[95:96], v[48:49], v[14:15]
	;; [unrolled: 3-line block ×8, first 2 shown]
	v_fma_f64 v[44:45], v[44:45], v[2:3], v[89:90]
	v_fma_f64 v[46:47], v[46:47], v[2:3], -v[91:92]
	v_fma_f64 v[48:49], v[48:49], v[12:13], v[93:94]
	v_fma_f64 v[50:51], v[50:51], v[12:13], -v[95:96]
	s_wait_loadcnt 0x4
	v_mul_f64_e32 v[121:122], v[79:80], v[37:38]
	v_mul_f64_e32 v[123:124], v[77:78], v[37:38]
	s_wait_loadcnt 0x2
	v_mul_f64_e32 v[125:126], v[83:84], v[33:34]
	v_mul_f64_e32 v[127:128], v[81:82], v[33:34]
	;; [unrolled: 3-line block ×3, first 2 shown]
	s_clause 0x2
	scratch_store_b128 off, v[35:38], off offset:220
	scratch_store_b128 off, v[31:34], off offset:204
	scratch_store_b128 off, v[39:42], off offset:236
	v_fma_f64 v[52:53], v[52:53], v[6:7], v[97:98]
	v_fma_f64 v[54:55], v[54:55], v[6:7], -v[99:100]
	v_fma_f64 v[56:57], v[56:57], v[18:19], v[101:102]
	v_fma_f64 v[58:59], v[58:59], v[18:19], -v[103:104]
	;; [unrolled: 2-line block ×9, first 2 shown]
	ds_store_b128 v193, v[44:47]
	ds_store_b128 v193, v[48:51] offset:880
	ds_store_b128 v193, v[52:55] offset:1760
	;; [unrolled: 1-line block ×10, first 2 shown]
	global_wb scope:SCOPE_SE
	s_wait_storecnt_dscnt 0x0
	s_wait_kmcnt 0x0
	s_barrier_signal -1
	s_barrier_wait -1
	global_inv scope:SCOPE_SE
	ds_load_b128 v[48:51], v193
	ds_load_b128 v[68:71], v193 offset:880
	ds_load_b128 v[44:47], v193 offset:8800
	;; [unrolled: 1-line block ×10, first 2 shown]
	global_wb scope:SCOPE_SE
	s_wait_dscnt 0x0
	s_barrier_signal -1
	s_barrier_wait -1
	global_inv scope:SCOPE_SE
	v_add_f64_e32 v[89:90], v[48:49], v[68:69]
	v_add_f64_e32 v[91:92], v[50:51], v[70:71]
	v_add_f64_e64 v[93:94], v[70:71], -v[46:47]
	v_add_f64_e64 v[95:96], v[68:69], -v[44:45]
	;; [unrolled: 1-line block ×4, first 2 shown]
	v_add_f64_e32 v[105:106], v[77:78], v[56:57]
	v_add_f64_e32 v[107:108], v[79:80], v[58:59]
	v_add_f64_e64 v[97:98], v[75:76], -v[54:55]
	v_add_f64_e64 v[99:100], v[73:74], -v[52:53]
	v_add_f64_e32 v[68:69], v[68:69], v[44:45]
	v_add_f64_e32 v[70:71], v[70:71], v[46:47]
	v_add_f64_e64 v[121:122], v[85:86], -v[64:65]
	v_add_f64_e32 v[109:110], v[81:82], v[60:61]
	v_add_f64_e64 v[111:112], v[83:84], -v[62:63]
	v_add_f64_e64 v[113:114], v[81:82], -v[60:61]
	v_add_f64_e32 v[115:116], v[83:84], v[62:63]
	v_add_f64_e32 v[117:118], v[85:86], v[64:65]
	;; [unrolled: 1-line block ×3, first 2 shown]
	v_add_f64_e64 v[123:124], v[87:88], -v[66:67]
	v_add_f64_e32 v[89:90], v[89:90], v[73:74]
	v_add_f64_e32 v[91:92], v[91:92], v[75:76]
	v_mul_f64_e32 v[125:126], s[24:25], v[93:94]
	v_mul_f64_e32 v[127:128], s[24:25], v[95:96]
	;; [unrolled: 1-line block ×12, first 2 shown]
	s_mov_b32 s21, 0x3fed1bb4
	v_add_f64_e32 v[73:74], v[73:74], v[52:53]
	v_add_f64_e32 v[75:76], v[75:76], v[54:55]
	v_mul_f64_e32 v[145:146], s[26:27], v[97:98]
	v_mul_f64_e32 v[147:148], s[26:27], v[99:100]
	;; [unrolled: 1-line block ×16, first 2 shown]
	s_wait_alu 0xfffe
	v_mul_f64_e32 v[101:102], s[20:21], v[101:102]
	v_mul_f64_e32 v[103:104], s[20:21], v[103:104]
	;; [unrolled: 1-line block ×5, first 2 shown]
	v_add_f64_e32 v[77:78], v[89:90], v[77:78]
	v_add_f64_e32 v[79:80], v[91:92], v[79:80]
	v_mul_f64_e32 v[89:90], s[36:37], v[97:98]
	v_mul_f64_e32 v[91:92], s[36:37], v[99:100]
	v_fma_f64 v[205:206], v[68:69], s[12:13], -v[129:130]
	v_fma_f64 v[207:208], v[70:71], s[12:13], v[131:132]
	v_fma_f64 v[209:210], v[68:69], s[14:15], -v[133:134]
	v_fma_f64 v[211:212], v[70:71], s[14:15], v[135:136]
	v_fma_f64 v[129:130], v[68:69], s[12:13], v[129:130]
	;; [unrolled: 1-line block ×3, first 2 shown]
	v_fma_f64 v[213:214], v[68:69], s[16:17], -v[137:138]
	v_fma_f64 v[215:216], v[70:71], s[16:17], v[139:140]
	v_mul_f64_e32 v[97:98], s[30:31], v[97:98]
	v_mul_f64_e32 v[99:100], s[30:31], v[99:100]
	v_fma_f64 v[137:138], v[68:69], s[16:17], v[137:138]
	v_fma_f64 v[217:218], v[68:69], s[18:19], -v[93:94]
	v_fma_f64 v[219:220], v[70:71], s[18:19], v[95:96]
	v_fma_f64 v[131:132], v[70:71], s[12:13], -v[131:132]
	v_fma_f64 v[135:136], v[70:71], s[14:15], -v[135:136]
	;; [unrolled: 1-line block ×4, first 2 shown]
	v_fma_f64 v[223:224], v[75:76], s[16:17], v[147:148]
	v_fma_f64 v[145:146], v[73:74], s[16:17], v[145:146]
	v_fma_f64 v[229:230], v[73:74], s[14:15], -v[149:150]
	v_fma_f64 v[231:232], v[75:76], s[14:15], v[151:152]
	v_fma_f64 v[149:150], v[73:74], s[14:15], v[149:150]
	v_fma_f64 v[147:148], v[75:76], s[16:17], -v[147:148]
	v_mul_f64_e32 v[175:176], s[34:35], v[113:114]
	v_mul_f64_e32 v[177:178], s[24:25], v[111:112]
	;; [unrolled: 1-line block ×7, first 2 shown]
	v_fma_f64 v[233:234], v[105:106], s[18:19], -v[157:158]
	v_fma_f64 v[235:236], v[107:108], s[18:19], v[159:160]
	v_fma_f64 v[157:158], v[105:106], s[18:19], v[157:158]
	v_fma_f64 v[159:160], v[107:108], s[18:19], -v[159:160]
	v_add_f64_e32 v[77:78], v[77:78], v[81:82]
	v_add_f64_e32 v[79:80], v[79:80], v[83:84]
	v_mul_f64_e32 v[81:82], s[20:21], v[121:122]
	v_fma_f64 v[83:84], v[68:69], s[2:3], -v[125:126]
	v_fma_f64 v[121:122], v[70:71], s[2:3], v[127:128]
	v_fma_f64 v[125:126], v[68:69], s[2:3], v[125:126]
	v_fma_f64 v[127:128], v[70:71], s[2:3], -v[127:128]
	v_fma_f64 v[68:69], v[68:69], s[18:19], v[93:94]
	v_fma_f64 v[70:71], v[70:71], s[18:19], -v[95:96]
	v_fma_f64 v[93:94], v[73:74], s[12:13], -v[141:142]
	v_fma_f64 v[95:96], v[75:76], s[12:13], v[143:144]
	v_fma_f64 v[141:142], v[73:74], s[12:13], v[141:142]
	v_fma_f64 v[143:144], v[75:76], s[12:13], -v[143:144]
	v_add_f64_e32 v[205:206], v[48:49], v[205:206]
	v_add_f64_e32 v[207:208], v[50:51], v[207:208]
	v_fma_f64 v[225:226], v[73:74], s[18:19], -v[89:90]
	v_fma_f64 v[227:228], v[75:76], s[18:19], v[91:92]
	v_add_f64_e32 v[209:210], v[48:49], v[209:210]
	v_add_f64_e32 v[211:212], v[50:51], v[211:212]
	v_fma_f64 v[89:90], v[73:74], s[18:19], v[89:90]
	v_add_f64_e32 v[129:130], v[48:49], v[129:130]
	v_add_f64_e32 v[133:134], v[48:49], v[133:134]
	;; [unrolled: 1-line block ×7, first 2 shown]
	v_fma_f64 v[91:92], v[75:76], s[18:19], -v[91:92]
	v_add_f64_e32 v[135:136], v[50:51], v[135:136]
	v_add_f64_e32 v[131:132], v[50:51], v[131:132]
	v_fma_f64 v[237:238], v[105:106], s[2:3], -v[161:162]
	v_fma_f64 v[239:240], v[107:108], s[2:3], v[163:164]
	v_fma_f64 v[161:162], v[105:106], s[2:3], v[161:162]
	v_fma_f64 v[163:164], v[107:108], s[2:3], -v[163:164]
	v_fma_f64 v[245:246], v[105:106], s[12:13], -v[101:102]
	v_fma_f64 v[101:102], v[105:106], s[12:13], v[101:102]
	v_mul_f64_e32 v[189:190], s[30:31], v[123:124]
	v_fma_f64 v[241:242], v[109:110], s[14:15], -v[173:174]
	v_add_f64_e32 v[77:78], v[77:78], v[85:86]
	v_add_f64_e32 v[79:80], v[79:80], v[87:88]
	v_fma_f64 v[85:86], v[75:76], s[14:15], -v[151:152]
	v_add_f64_e32 v[83:84], v[48:49], v[83:84]
	v_fma_f64 v[87:88], v[73:74], s[2:3], -v[97:98]
	v_add_f64_e32 v[125:126], v[48:49], v[125:126]
	v_add_f64_e32 v[127:128], v[50:51], v[127:128]
	v_fma_f64 v[151:152], v[75:76], s[2:3], v[99:100]
	v_fma_f64 v[73:74], v[73:74], s[2:3], v[97:98]
	v_fma_f64 v[75:76], v[75:76], s[2:3], -v[99:100]
	v_add_f64_e32 v[48:49], v[48:49], v[68:69]
	v_add_f64_e32 v[68:69], v[50:51], v[70:71]
	v_add_f64_e32 v[70:71], v[50:51], v[139:140]
	v_add_f64_e32 v[50:51], v[50:51], v[121:122]
	v_fma_f64 v[97:98], v[105:106], s[14:15], -v[153:154]
	v_fma_f64 v[99:100], v[107:108], s[14:15], v[155:156]
	v_fma_f64 v[153:154], v[105:106], s[14:15], v[153:154]
	v_fma_f64 v[155:156], v[107:108], s[14:15], -v[155:156]
	v_fma_f64 v[121:122], v[105:106], s[16:17], v[165:166]
	v_fma_f64 v[139:140], v[107:108], s[16:17], -v[167:168]
	v_add_f64_e32 v[129:130], v[145:146], v[129:130]
	v_add_f64_e32 v[89:90], v[89:90], v[133:134]
	;; [unrolled: 1-line block ×5, first 2 shown]
	v_fma_f64 v[243:244], v[115:116], s[14:15], v[175:176]
	v_fma_f64 v[173:174], v[109:110], s[14:15], v[173:174]
	v_fma_f64 v[175:176], v[115:116], s[14:15], -v[175:176]
	v_mul_f64_e32 v[197:198], s[26:27], v[123:124]
	v_mul_f64_e32 v[185:186], s[28:29], v[123:124]
	v_mul_f64_e32 v[201:202], s[22:23], v[123:124]
	v_mul_f64_e32 v[123:124], s[20:21], v[123:124]
	v_add_f64_e32 v[64:65], v[77:78], v[64:65]
	v_add_f64_e32 v[66:67], v[79:80], v[66:67]
	v_fma_f64 v[77:78], v[105:106], s[16:17], -v[165:166]
	v_fma_f64 v[79:80], v[107:108], s[16:17], v[167:168]
	v_fma_f64 v[105:106], v[107:108], s[12:13], v[103:104]
	v_fma_f64 v[103:104], v[107:108], s[12:13], -v[103:104]
	v_add_f64_e32 v[83:84], v[93:94], v[83:84]
	v_add_f64_e32 v[93:94], v[141:142], v[125:126]
	;; [unrolled: 1-line block ×15, first 2 shown]
	v_fma_f64 v[165:166], v[109:110], s[16:17], -v[169:170]
	v_fma_f64 v[167:168], v[115:116], s[16:17], v[171:172]
	v_fma_f64 v[169:170], v[109:110], s[16:17], v[169:170]
	v_fma_f64 v[171:172], v[115:116], s[16:17], -v[171:172]
	v_fma_f64 v[85:86], v[109:110], s[2:3], v[177:178]
	v_fma_f64 v[91:92], v[115:116], s[2:3], -v[179:180]
	v_fma_f64 v[95:96], v[109:110], s[18:19], -v[181:182]
	v_fma_f64 v[131:132], v[115:116], s[18:19], v[183:184]
	v_fma_f64 v[135:136], v[109:110], s[18:19], v[181:182]
	v_fma_f64 v[147:148], v[115:116], s[18:19], -v[183:184]
	v_fma_f64 v[183:184], v[109:110], s[12:13], -v[111:112]
	v_add_f64_e32 v[89:90], v[101:102], v[89:90]
	v_add_f64_e32 v[101:102], v[237:238], v[133:134]
	;; [unrolled: 1-line block ×3, first 2 shown]
	v_fma_f64 v[151:152], v[117:118], s[18:19], -v[185:186]
	v_fma_f64 v[181:182], v[119:120], s[18:19], -v[187:188]
	v_fma_f64 v[137:138], v[117:118], s[16:17], v[197:198]
	v_add_f64_e32 v[60:61], v[64:65], v[60:61]
	v_add_f64_e32 v[62:63], v[66:67], v[62:63]
	v_fma_f64 v[64:65], v[109:110], s[2:3], -v[177:178]
	v_fma_f64 v[66:67], v[115:116], s[2:3], v[179:180]
	v_fma_f64 v[109:110], v[109:110], s[12:13], v[111:112]
	;; [unrolled: 1-line block ×3, first 2 shown]
	v_fma_f64 v[113:114], v[115:116], s[12:13], -v[113:114]
	v_add_f64_e32 v[83:84], v[97:98], v[83:84]
	v_add_f64_e32 v[97:98], v[155:156], v[107:108]
	;; [unrolled: 1-line block ×17, first 2 shown]
	v_fma_f64 v[103:104], v[117:118], s[16:17], -v[197:198]
	v_fma_f64 v[121:122], v[119:120], s[16:17], v[199:200]
	v_fma_f64 v[153:154], v[117:118], s[12:13], -v[123:124]
	v_fma_f64 v[155:156], v[119:120], s[12:13], v[81:82]
	;; [unrolled: 2-line block ×3, first 2 shown]
	v_fma_f64 v[177:178], v[119:120], s[18:19], v[187:188]
	v_fma_f64 v[179:180], v[117:118], s[18:19], v[185:186]
	v_add_f64_e32 v[85:86], v[85:86], v[89:90]
	v_add_f64_e32 v[89:90], v[95:96], v[101:102]
	v_fma_f64 v[99:100], v[119:120], s[2:3], -v[195:196]
	v_fma_f64 v[139:140], v[119:120], s[16:17], -v[199:200]
	v_fma_f64 v[145:146], v[117:118], s[14:15], v[201:202]
	v_fma_f64 v[149:150], v[119:120], s[14:15], -v[203:204]
	v_add_f64_e32 v[56:57], v[60:61], v[56:57]
	v_add_f64_e32 v[58:59], v[62:63], v[58:59]
	v_fma_f64 v[60:61], v[117:118], s[2:3], -v[189:190]
	v_fma_f64 v[62:63], v[119:120], s[2:3], v[195:196]
	v_fma_f64 v[119:120], v[119:120], s[12:13], -v[81:82]
	v_fma_f64 v[87:88], v[117:118], s[2:3], v[189:190]
	v_fma_f64 v[117:118], v[117:118], s[12:13], v[123:124]
	v_add_f64_e32 v[81:82], v[165:166], v[83:84]
	v_add_f64_e32 v[97:98], v[171:172], v[97:98]
	;; [unrolled: 1-line block ×18, first 2 shown]
	v_lshlrev_b32_e32 v160, 4, v0
	v_add_co_u32 v0, s2, s8, v193
	s_wait_alu 0xf1ff
	v_add_co_ci_u32_e64 v1, null, s9, 0, s2
	v_add_f64_e32 v[68:69], v[153:154], v[89:90]
	v_add_f64_e32 v[129:130], v[56:57], v[52:53]
	;; [unrolled: 1-line block ×22, first 2 shown]
                                        ; implicit-def: $vgpr104_vgpr105
                                        ; implicit-def: $vgpr108_vgpr109
                                        ; implicit-def: $vgpr112_vgpr113
	v_add_f64_e32 v[44:45], v[129:130], v[44:45]
	v_add_f64_e32 v[46:47], v[131:132], v[46:47]
	ds_store_b128 v160, v[52:55] offset:32
	ds_store_b128 v160, v[60:63] offset:48
	;; [unrolled: 1-line block ×9, first 2 shown]
	ds_store_b128 v160, v[44:47]
	ds_store_b128 v160, v[48:51] offset:16
	global_wb scope:SCOPE_SE
	s_wait_dscnt 0x0
	s_barrier_signal -1
	s_barrier_wait -1
	global_inv scope:SCOPE_SE
	ds_load_b128 v[100:103], v193
	ds_load_b128 v[96:99], v193 offset:880
	ds_load_b128 v[76:79], v193 offset:1936
	ds_load_b128 v[44:47], v193 offset:2816
	ds_load_b128 v[68:71], v193 offset:3872
	ds_load_b128 v[84:87], v193 offset:4752
	ds_load_b128 v[88:91], v193 offset:5808
	ds_load_b128 v[56:59], v193 offset:6688
	ds_load_b128 v[80:83], v193 offset:7744
	ds_load_b128 v[48:51], v193 offset:8624
	scratch_store_b64 off, v[0:1], off offset:280 ; 8-byte Folded Spill
                                        ; implicit-def: $vgpr52_vgpr53
	s_and_saveexec_b32 s2, vcc_lo
	s_cbranch_execz .LBB0_3
; %bb.2:
	ds_load_b128 v[92:95], v193 offset:1760
	ds_load_b128 v[104:107], v193 offset:3696
	ds_load_b128 v[52:55], v193 offset:5632
	ds_load_b128 v[108:111], v193 offset:7568
	ds_load_b128 v[112:115], v193 offset:9504
.LBB0_3:
	s_wait_alu 0xfffe
	s_or_b32 exec_lo, exec_lo, s2
	v_and_b32_e32 v0, 0xff, v30
	s_mov_b32 s14, 0x134454ff
	s_mov_b32 s15, 0x3fee6f0e
	;; [unrolled: 1-line block ×3, first 2 shown]
	s_wait_alu 0xfffe
	s_mov_b32 s16, s14
	v_mul_lo_u16 v0, 0x75, v0
	s_mov_b32 s2, 0x4755a5e
	s_mov_b32 s3, 0x3fe2cf23
	;; [unrolled: 1-line block ×3, first 2 shown]
	s_wait_alu 0xfffe
	s_mov_b32 s12, s2
	v_lshrrev_b16 v0, 8, v0
	s_mov_b32 s18, 0x372fe950
	s_mov_b32 s19, 0x3fd3c6ef
	s_delay_alu instid0(VALU_DEP_1) | instskip(NEXT) | instid1(VALU_DEP_1)
	v_sub_nc_u16 v1, v30, v0
	v_lshrrev_b16 v1, 1, v1
	s_delay_alu instid0(VALU_DEP_1) | instskip(NEXT) | instid1(VALU_DEP_1)
	v_and_b32_e32 v1, 0x7f, v1
	v_add_nc_u16 v0, v1, v0
	s_delay_alu instid0(VALU_DEP_1) | instskip(NEXT) | instid1(VALU_DEP_1)
	v_lshrrev_b16 v133, 3, v0
	v_mul_lo_u16 v0, v133, 11
	s_delay_alu instid0(VALU_DEP_1) | instskip(NEXT) | instid1(VALU_DEP_1)
	v_sub_nc_u16 v0, v30, v0
	v_and_b32_e32 v132, 0xff, v0
	s_delay_alu instid0(VALU_DEP_1)
	v_lshlrev_b32_e32 v0, 6, v132
	s_clause 0x1
	global_load_b128 v[1:4], v0, s[10:11] offset:16
	global_load_b128 v[64:67], v0, s[10:11]
	s_wait_loadcnt_dscnt 0x105
	v_mul_f64_e32 v[72:73], v[70:71], v[3:4]
	scratch_store_b128 off, v[1:4], off offset:252 ; 16-byte Folded Spill
	v_fma_f64 v[120:121], v[68:69], v[1:2], -v[72:73]
	v_mul_f64_e32 v[68:69], v[68:69], v[3:4]
	s_delay_alu instid0(VALU_DEP_1) | instskip(SKIP_4) | instid1(VALU_DEP_1)
	v_fma_f64 v[122:123], v[70:71], v[1:2], v[68:69]
	s_clause 0x1
	global_load_b128 v[68:71], v0, s[10:11] offset:32
	global_load_b128 v[72:75], v0, s[10:11] offset:48
	v_add_nc_u16 v0, v30, 55
	v_and_b32_e32 v1, 0xff, v0
	s_delay_alu instid0(VALU_DEP_1) | instskip(NEXT) | instid1(VALU_DEP_1)
	v_mul_lo_u16 v1, 0x75, v1
	v_lshrrev_b16 v1, 8, v1
	s_delay_alu instid0(VALU_DEP_1) | instskip(NEXT) | instid1(VALU_DEP_1)
	v_sub_nc_u16 v2, v0, v1
	v_lshrrev_b16 v2, 1, v2
	s_delay_alu instid0(VALU_DEP_1) | instskip(NEXT) | instid1(VALU_DEP_1)
	v_and_b32_e32 v2, 0x7f, v2
	v_add_nc_u16 v1, v2, v1
	s_delay_alu instid0(VALU_DEP_1) | instskip(NEXT) | instid1(VALU_DEP_1)
	v_lshrrev_b16 v134, 3, v1
	v_mul_lo_u16 v1, v134, 11
	s_delay_alu instid0(VALU_DEP_1) | instskip(NEXT) | instid1(VALU_DEP_1)
	v_sub_nc_u16 v0, v0, v1
	v_and_b32_e32 v135, 0xff, v0
	s_delay_alu instid0(VALU_DEP_1) | instskip(SKIP_2) | instid1(VALU_DEP_1)
	v_lshlrev_b32_e32 v0, 6, v135
	s_wait_loadcnt_dscnt 0x103
	v_mul_f64_e32 v[116:117], v[90:91], v[70:71]
	v_fma_f64 v[145:146], v[88:89], v[68:69], -v[116:117]
	v_mul_f64_e32 v[88:89], v[88:89], v[70:71]
	s_delay_alu instid0(VALU_DEP_2) | instskip(NEXT) | instid1(VALU_DEP_2)
	v_add_f64_e64 v[167:168], v[120:121], -v[145:146]
	v_fma_f64 v[154:155], v[90:91], v[68:69], v[88:89]
	v_mul_f64_e32 v[88:89], v[78:79], v[66:67]
	s_delay_alu instid0(VALU_DEP_2) | instskip(NEXT) | instid1(VALU_DEP_2)
	v_add_f64_e64 v[163:164], v[122:123], -v[154:155]
	v_fma_f64 v[150:151], v[76:77], v[64:65], -v[88:89]
	v_mul_f64_e32 v[76:77], v[76:77], v[66:67]
	s_delay_alu instid0(VALU_DEP_2) | instskip(NEXT) | instid1(VALU_DEP_2)
	v_add_f64_e64 v[169:170], v[120:121], -v[150:151]
	v_fma_f64 v[152:153], v[78:79], v[64:65], v[76:77]
	s_wait_loadcnt_dscnt 0x1
	v_mul_f64_e32 v[76:77], v[82:83], v[74:75]
	s_delay_alu instid0(VALU_DEP_1) | instskip(SKIP_1) | instid1(VALU_DEP_2)
	v_fma_f64 v[156:157], v[80:81], v[72:73], -v[76:77]
	v_mul_f64_e32 v[76:77], v[80:81], v[74:75]
	v_add_f64_e64 v[165:166], v[150:151], -v[156:157]
	s_delay_alu instid0(VALU_DEP_2)
	v_fma_f64 v[158:159], v[82:83], v[72:73], v[76:77]
	s_clause 0x1
	global_load_b128 v[76:79], v0, s[10:11] offset:16
	global_load_b128 v[80:83], v0, s[10:11]
	v_add_f64_e64 v[137:138], v[158:159], -v[154:155]
	v_add_f64_e64 v[161:162], v[152:153], -v[158:159]
	s_wait_loadcnt 0x1
	v_mul_f64_e32 v[88:89], v[86:87], v[78:79]
	s_delay_alu instid0(VALU_DEP_1) | instskip(SKIP_1) | instid1(VALU_DEP_1)
	v_fma_f64 v[116:117], v[84:85], v[76:77], -v[88:89]
	v_mul_f64_e32 v[84:85], v[84:85], v[78:79]
	v_fma_f64 v[118:119], v[86:87], v[76:77], v[84:85]
	s_clause 0x1
	global_load_b128 v[84:87], v0, s[10:11] offset:32
	global_load_b128 v[88:91], v0, s[10:11] offset:48
	v_add_nc_u16 v0, v30, 0x6e
	s_delay_alu instid0(VALU_DEP_1) | instskip(NEXT) | instid1(VALU_DEP_1)
	v_and_b32_e32 v1, 0xff, v0
	v_mul_lo_u16 v1, 0x75, v1
	s_delay_alu instid0(VALU_DEP_1) | instskip(NEXT) | instid1(VALU_DEP_1)
	v_lshrrev_b16 v1, 8, v1
	v_sub_nc_u16 v2, v0, v1
	s_delay_alu instid0(VALU_DEP_1) | instskip(NEXT) | instid1(VALU_DEP_1)
	v_lshrrev_b16 v2, 1, v2
	v_and_b32_e32 v2, 0x7f, v2
	s_delay_alu instid0(VALU_DEP_1) | instskip(NEXT) | instid1(VALU_DEP_1)
	v_add_nc_u16 v1, v2, v1
	v_lshrrev_b16 v1, 3, v1
	s_delay_alu instid0(VALU_DEP_1) | instskip(NEXT) | instid1(VALU_DEP_1)
	v_mul_lo_u16 v1, v1, 11
	v_sub_nc_u16 v136, v0, v1
	s_delay_alu instid0(VALU_DEP_1) | instskip(NEXT) | instid1(VALU_DEP_1)
	v_lshlrev_b16 v0, 2, v136
	v_and_b32_e32 v0, 0xfc, v0
	s_delay_alu instid0(VALU_DEP_1)
	v_lshlrev_b32_e32 v0, 4, v0
	s_clause 0x1
	global_load_b128 v[1:4], v0, s[10:11] offset:16
	global_load_b128 v[5:8], v0, s[10:11]
	s_wait_loadcnt 0x3
	v_mul_f64_e32 v[124:125], v[58:59], v[86:87]
	s_delay_alu instid0(VALU_DEP_1)
	v_fma_f64 v[173:174], v[56:57], v[84:85], -v[124:125]
	v_mul_f64_e32 v[56:57], v[56:57], v[86:87]
	s_wait_loadcnt 0x1
	scratch_store_b128 off, v[1:4], off offset:288 ; 16-byte Folded Spill
	v_add_f64_e64 v[185:186], v[116:117], -v[173:174]
	v_fma_f64 v[175:176], v[58:59], v[84:85], v[56:57]
	v_mul_f64_e32 v[56:57], v[46:47], v[82:83]
	s_delay_alu instid0(VALU_DEP_1) | instskip(SKIP_2) | instid1(VALU_DEP_2)
	v_fma_f64 v[177:178], v[44:45], v[80:81], -v[56:57]
	v_mul_f64_e32 v[56:57], v[54:55], v[3:4]
	v_mul_f64_e32 v[44:45], v[44:45], v[82:83]
	v_fma_f64 v[124:125], v[52:53], v[1:2], -v[56:57]
	v_mul_f64_e32 v[52:53], v[52:53], v[3:4]
	s_delay_alu instid0(VALU_DEP_3) | instskip(SKIP_2) | instid1(VALU_DEP_3)
	v_fma_f64 v[179:180], v[46:47], v[80:81], v[44:45]
	s_wait_dscnt 0x0
	v_mul_f64_e32 v[44:45], v[50:51], v[90:91]
	v_fma_f64 v[126:127], v[54:55], v[1:2], v[52:53]
	s_clause 0x1
	global_load_b128 v[1:4], v0, s[10:11] offset:32
	global_load_b128 v[9:12], v0, s[10:11] offset:48
	v_fma_f64 v[181:182], v[48:49], v[88:89], -v[44:45]
	v_mul_f64_e32 v[44:45], v[48:49], v[90:91]
	s_delay_alu instid0(VALU_DEP_1)
	v_fma_f64 v[183:184], v[50:51], v[88:89], v[44:45]
	s_wait_loadcnt 0x1
	v_mul_f64_e32 v[128:129], v[110:111], v[3:4]
	scratch_store_b128 off, v[1:4], off offset:320 ; 16-byte Folded Spill
	v_fma_f64 v[128:129], v[108:109], v[1:2], -v[128:129]
	v_mul_f64_e32 v[108:109], v[108:109], v[3:4]
	s_delay_alu instid0(VALU_DEP_1) | instskip(SKIP_1) | instid1(VALU_DEP_1)
	v_fma_f64 v[108:109], v[110:111], v[1:2], v[108:109]
	v_mul_f64_e32 v[110:111], v[106:107], v[7:8]
	v_fma_f64 v[110:111], v[104:105], v[5:6], -v[110:111]
	v_mul_f64_e32 v[104:105], v[104:105], v[7:8]
	s_delay_alu instid0(VALU_DEP_1) | instskip(SKIP_3) | instid1(VALU_DEP_2)
	v_fma_f64 v[130:131], v[106:107], v[5:6], v[104:105]
	s_wait_loadcnt 0x0
	v_mul_f64_e32 v[104:105], v[114:115], v[11:12]
	v_mul_f64_e32 v[106:107], v[112:113], v[11:12]
	v_fma_f64 v[104:105], v[112:113], v[9:10], -v[104:105]
	s_delay_alu instid0(VALU_DEP_2) | instskip(SKIP_2) | instid1(VALU_DEP_1)
	v_fma_f64 v[106:107], v[114:115], v[9:10], v[106:107]
	v_add_f64_e64 v[112:113], v[150:151], -v[120:121]
	v_add_f64_e64 v[114:115], v[156:157], -v[145:146]
	v_add_f64_e32 v[112:113], v[112:113], v[114:115]
	v_add_f64_e64 v[114:115], v[152:153], -v[122:123]
	s_delay_alu instid0(VALU_DEP_1) | instskip(SKIP_1) | instid1(VALU_DEP_1)
	v_add_f64_e32 v[114:115], v[114:115], v[137:138]
	v_add_f64_e32 v[137:138], v[120:121], v[145:146]
	v_fma_f64 v[141:142], v[137:138], -0.5, v[100:101]
	v_add_f64_e32 v[137:138], v[122:123], v[154:155]
	s_delay_alu instid0(VALU_DEP_1) | instskip(NEXT) | instid1(VALU_DEP_3)
	v_fma_f64 v[143:144], v[137:138], -0.5, v[102:103]
	v_fma_f64 v[137:138], v[161:162], s[14:15], v[141:142]
	v_fma_f64 v[141:142], v[161:162], s[16:17], v[141:142]
	s_delay_alu instid0(VALU_DEP_3) | instskip(SKIP_1) | instid1(VALU_DEP_4)
	v_fma_f64 v[139:140], v[165:166], s[16:17], v[143:144]
	v_fma_f64 v[143:144], v[165:166], s[14:15], v[143:144]
	;; [unrolled: 1-line block ×3, first 2 shown]
	s_wait_alu 0xfffe
	s_delay_alu instid0(VALU_DEP_4) | instskip(NEXT) | instid1(VALU_DEP_4)
	v_fma_f64 v[141:142], v[163:164], s[12:13], v[141:142]
	v_fma_f64 v[139:140], v[167:168], s[12:13], v[139:140]
	s_delay_alu instid0(VALU_DEP_4) | instskip(NEXT) | instid1(VALU_DEP_4)
	v_fma_f64 v[143:144], v[167:168], s[2:3], v[143:144]
	v_fma_f64 v[137:138], v[112:113], s[18:19], v[137:138]
	s_delay_alu instid0(VALU_DEP_4) | instskip(SKIP_4) | instid1(VALU_DEP_4)
	v_fma_f64 v[141:142], v[112:113], s[18:19], v[141:142]
	v_add_f64_e32 v[112:113], v[150:151], v[156:157]
	v_fma_f64 v[139:140], v[114:115], s[18:19], v[139:140]
	v_fma_f64 v[143:144], v[114:115], s[18:19], v[143:144]
	v_add_f64_e32 v[114:115], v[152:153], v[158:159]
	v_fma_f64 v[112:113], v[112:113], -0.5, v[100:101]
	v_add_f64_e32 v[100:101], v[100:101], v[150:151]
	s_delay_alu instid0(VALU_DEP_3) | instskip(SKIP_1) | instid1(VALU_DEP_3)
	v_fma_f64 v[114:115], v[114:115], -0.5, v[102:103]
	v_add_f64_e32 v[102:103], v[102:103], v[152:153]
	v_add_f64_e32 v[100:101], v[100:101], v[120:121]
	v_add_f64_e64 v[120:121], v[122:123], -v[152:153]
	s_delay_alu instid0(VALU_DEP_3) | instskip(SKIP_1) | instid1(VALU_DEP_4)
	v_add_f64_e32 v[102:103], v[102:103], v[122:123]
	v_add_f64_e64 v[122:123], v[145:146], -v[156:157]
	v_add_f64_e32 v[100:101], v[100:101], v[145:146]
	v_fma_f64 v[145:146], v[167:168], s[14:15], v[114:115]
	v_fma_f64 v[114:115], v[167:168], s[16:17], v[114:115]
	v_add_f64_e32 v[102:103], v[102:103], v[154:155]
	v_add_f64_e32 v[122:123], v[169:170], v[122:123]
	;; [unrolled: 1-line block ×3, first 2 shown]
	v_add_f64_e64 v[100:101], v[154:155], -v[158:159]
	v_fma_f64 v[114:115], v[165:166], s[2:3], v[114:115]
	v_add_f64_e32 v[152:153], v[102:103], v[158:159]
	v_fma_f64 v[102:103], v[163:164], s[16:17], v[112:113]
	v_fma_f64 v[112:113], v[163:164], s[14:15], v[112:113]
	v_add_f64_e32 v[100:101], v[120:121], v[100:101]
	v_fma_f64 v[120:121], v[165:166], s[12:13], v[145:146]
	v_add_f64_e64 v[158:159], v[177:178], -v[181:182]
	v_fma_f64 v[102:103], v[161:162], s[2:3], v[102:103]
	v_fma_f64 v[112:113], v[161:162], s[12:13], v[112:113]
	;; [unrolled: 1-line block ×4, first 2 shown]
	v_add_f64_e64 v[100:101], v[177:178], -v[116:117]
	v_add_f64_e32 v[114:115], v[118:119], v[175:176]
	v_add_f64_e64 v[120:121], v[179:180], -v[183:184]
	v_fma_f64 v[154:155], v[122:123], s[18:19], v[102:103]
	v_add_f64_e64 v[102:103], v[181:182], -v[173:174]
	v_fma_f64 v[161:162], v[122:123], s[18:19], v[112:113]
	v_add_f64_e64 v[112:113], v[183:184], -v[175:176]
	v_add_f64_e64 v[122:123], v[118:119], -v[175:176]
	v_fma_f64 v[114:115], v[114:115], -0.5, v[98:99]
	v_add_f64_e32 v[100:101], v[100:101], v[102:103]
	v_add_f64_e64 v[102:103], v[179:180], -v[118:119]
	s_delay_alu instid0(VALU_DEP_3) | instskip(SKIP_1) | instid1(VALU_DEP_3)
	v_fma_f64 v[165:166], v[158:159], s[16:17], v[114:115]
	v_fma_f64 v[114:115], v[158:159], s[14:15], v[114:115]
	v_add_f64_e32 v[102:103], v[102:103], v[112:113]
	v_add_f64_e32 v[112:113], v[116:117], v[173:174]
	s_delay_alu instid0(VALU_DEP_4) | instskip(NEXT) | instid1(VALU_DEP_4)
	v_fma_f64 v[167:168], v[185:186], s[12:13], v[165:166]
	v_fma_f64 v[114:115], v[185:186], s[2:3], v[114:115]
	s_delay_alu instid0(VALU_DEP_3) | instskip(NEXT) | instid1(VALU_DEP_3)
	v_fma_f64 v[112:113], v[112:113], -0.5, v[96:97]
	v_fma_f64 v[167:168], v[102:103], s[18:19], v[167:168]
	s_delay_alu instid0(VALU_DEP_3) | instskip(SKIP_4) | instid1(VALU_DEP_4)
	v_fma_f64 v[171:172], v[102:103], s[18:19], v[114:115]
	v_add_f64_e32 v[102:103], v[179:180], v[183:184]
	v_add_f64_e64 v[114:115], v[118:119], -v[179:180]
	v_fma_f64 v[145:146], v[120:121], s[14:15], v[112:113]
	v_fma_f64 v[112:113], v[120:121], s[16:17], v[112:113]
	v_fma_f64 v[102:103], v[102:103], -0.5, v[98:99]
	v_add_f64_e32 v[98:99], v[98:99], v[179:180]
	s_delay_alu instid0(VALU_DEP_4) | instskip(NEXT) | instid1(VALU_DEP_4)
	v_fma_f64 v[145:146], v[122:123], s[2:3], v[145:146]
	v_fma_f64 v[112:113], v[122:123], s[12:13], v[112:113]
	s_delay_alu instid0(VALU_DEP_3) | instskip(SKIP_1) | instid1(VALU_DEP_4)
	v_add_f64_e32 v[98:99], v[98:99], v[118:119]
	v_add_f64_e64 v[118:119], v[175:176], -v[183:184]
	v_fma_f64 v[165:166], v[100:101], s[18:19], v[145:146]
	s_delay_alu instid0(VALU_DEP_4) | instskip(SKIP_4) | instid1(VALU_DEP_4)
	v_fma_f64 v[169:170], v[100:101], s[18:19], v[112:113]
	v_add_f64_e32 v[100:101], v[177:178], v[181:182]
	v_add_f64_e64 v[112:113], v[116:117], -v[177:178]
	v_add_f64_e32 v[98:99], v[98:99], v[175:176]
	v_add_f64_e32 v[114:115], v[114:115], v[118:119]
	v_fma_f64 v[100:101], v[100:101], -0.5, v[96:97]
	v_add_f64_e32 v[96:97], v[96:97], v[177:178]
	s_delay_alu instid0(VALU_DEP_4) | instskip(NEXT) | instid1(VALU_DEP_3)
	v_add_f64_e32 v[98:99], v[98:99], v[183:184]
	v_fma_f64 v[145:146], v[122:123], s[16:17], v[100:101]
	s_delay_alu instid0(VALU_DEP_3)
	v_add_f64_e32 v[96:97], v[96:97], v[116:117]
	v_add_f64_e64 v[116:117], v[173:174], -v[181:182]
	v_fma_f64 v[100:101], v[122:123], s[14:15], v[100:101]
	v_fma_f64 v[122:123], v[185:186], s[14:15], v[102:103]
	v_fma_f64 v[102:103], v[185:186], s[16:17], v[102:103]
	v_add_f64_e64 v[185:186], v[108:109], -v[106:107]
	v_add_f64_e32 v[96:97], v[96:97], v[173:174]
	v_add_f64_e32 v[112:113], v[112:113], v[116:117]
	v_fma_f64 v[100:101], v[120:121], s[12:13], v[100:101]
	v_fma_f64 v[116:117], v[120:121], s[2:3], v[145:146]
	;; [unrolled: 1-line block ×4, first 2 shown]
	v_add_f64_e64 v[120:121], v[130:131], -v[106:107]
	v_add_f64_e64 v[145:146], v[110:111], -v[104:105]
	;; [unrolled: 1-line block ×4, first 2 shown]
	v_add_f64_e32 v[96:97], v[96:97], v[181:182]
	v_fma_f64 v[177:178], v[112:113], s[18:19], v[100:101]
	v_add_f64_e64 v[100:101], v[110:111], -v[124:125]
	v_fma_f64 v[179:180], v[114:115], s[18:19], v[102:103]
	v_add_f64_e64 v[102:103], v[104:105], -v[128:129]
	v_fma_f64 v[173:174], v[112:113], s[18:19], v[116:117]
	v_fma_f64 v[175:176], v[114:115], s[18:19], v[118:119]
	s_delay_alu instid0(VALU_DEP_3) | instskip(SKIP_2) | instid1(VALU_DEP_1)
	v_add_f64_e32 v[112:113], v[100:101], v[102:103]
	v_add_f64_e64 v[100:101], v[130:131], -v[126:127]
	v_add_f64_e64 v[102:103], v[106:107], -v[108:109]
	v_add_f64_e32 v[114:115], v[100:101], v[102:103]
	v_add_f64_e32 v[100:101], v[124:125], v[128:129]
	s_delay_alu instid0(VALU_DEP_1) | instskip(SKIP_1) | instid1(VALU_DEP_1)
	v_fma_f64 v[116:117], v[100:101], -0.5, v[92:93]
	v_add_f64_e32 v[100:101], v[126:127], v[108:109]
	v_fma_f64 v[118:119], v[100:101], -0.5, v[94:95]
	s_delay_alu instid0(VALU_DEP_3) | instskip(SKIP_1) | instid1(VALU_DEP_3)
	v_fma_f64 v[100:101], v[120:121], s[14:15], v[116:117]
	v_fma_f64 v[116:117], v[120:121], s[16:17], v[116:117]
	;; [unrolled: 1-line block ×3, first 2 shown]
	s_delay_alu instid0(VALU_DEP_3) | instskip(SKIP_1) | instid1(VALU_DEP_4)
	v_fma_f64 v[100:101], v[122:123], s[2:3], v[100:101]
	v_fma_f64 v[118:119], v[145:146], s[14:15], v[118:119]
	;; [unrolled: 1-line block ×3, first 2 shown]
	s_delay_alu instid0(VALU_DEP_4) | instskip(NEXT) | instid1(VALU_DEP_4)
	v_fma_f64 v[102:103], v[158:159], s[12:13], v[102:103]
	v_fma_f64 v[0:1], v[112:113], s[18:19], v[100:101]
	s_delay_alu instid0(VALU_DEP_4) | instskip(NEXT) | instid1(VALU_DEP_3)
	v_fma_f64 v[118:119], v[158:159], s[2:3], v[118:119]
	v_fma_f64 v[2:3], v[114:115], s[18:19], v[102:103]
	s_clause 0x1
	scratch_store_b128 off, v[5:8], off offset:304
	scratch_store_b128 off, v[0:3], off
	v_fma_f64 v[0:1], v[112:113], s[18:19], v[116:117]
	v_fma_f64 v[2:3], v[114:115], s[18:19], v[118:119]
	v_add_f64_e64 v[116:117], v[124:125], -v[110:111]
	v_add_f64_e64 v[118:119], v[128:129], -v[104:105]
	s_clause 0x1
	scratch_store_b128 off, v[9:12], off offset:336
	scratch_store_b128 off, v[0:3], off offset:16
	v_add_f64_e32 v[181:182], v[116:117], v[118:119]
	v_add_f64_e32 v[116:117], v[110:111], v[104:105]
	s_delay_alu instid0(VALU_DEP_1) | instskip(NEXT) | instid1(VALU_DEP_1)
	v_fma_f64 v[116:117], v[116:117], -0.5, v[92:93]
	v_fma_f64 v[118:119], v[122:123], s[16:17], v[116:117]
	v_fma_f64 v[116:117], v[122:123], s[14:15], v[116:117]
	v_add_f64_e32 v[122:123], v[130:131], v[106:107]
	s_delay_alu instid0(VALU_DEP_3) | instskip(NEXT) | instid1(VALU_DEP_3)
	v_fma_f64 v[118:119], v[120:121], s[2:3], v[118:119]
	v_fma_f64 v[120:121], v[120:121], s[12:13], v[116:117]
	s_delay_alu instid0(VALU_DEP_3) | instskip(NEXT) | instid1(VALU_DEP_3)
	v_fma_f64 v[122:123], v[122:123], -0.5, v[94:95]
	v_fma_f64 v[0:1], v[181:182], s[18:19], v[118:119]
	s_delay_alu instid0(VALU_DEP_2) | instskip(SKIP_2) | instid1(VALU_DEP_3)
	v_fma_f64 v[183:184], v[158:159], s[14:15], v[122:123]
	v_fma_f64 v[122:123], v[158:159], s[16:17], v[122:123]
	v_add_f64_e64 v[158:159], v[126:127], -v[130:131]
	v_fma_f64 v[183:184], v[145:146], s[12:13], v[183:184]
	s_delay_alu instid0(VALU_DEP_3) | instskip(NEXT) | instid1(VALU_DEP_3)
	v_fma_f64 v[122:123], v[145:146], s[2:3], v[122:123]
	v_add_f64_e32 v[158:159], v[158:159], v[185:186]
	s_delay_alu instid0(VALU_DEP_1)
	v_fma_f64 v[2:3], v[158:159], s[18:19], v[183:184]
	scratch_store_b128 off, v[0:3], off offset:32 ; 16-byte Folded Spill
	v_fma_f64 v[0:1], v[181:182], s[18:19], v[120:121]
	v_fma_f64 v[2:3], v[158:159], s[18:19], v[122:123]
	scratch_store_b128 off, v[0:3], off offset:48 ; 16-byte Folded Spill
	v_and_b32_e32 v0, 0xffff, v133
	global_wb scope:SCOPE_SE
	s_wait_storecnt 0x0
	s_barrier_signal -1
	s_barrier_wait -1
	global_inv scope:SCOPE_SE
	v_mul_u32_u24_e32 v0, 55, v0
	s_delay_alu instid0(VALU_DEP_1)
	v_add_lshl_u32 v0, v0, v132, 4
	ds_store_b128 v0, v[150:153]
	ds_store_b128 v0, v[137:140] offset:176
	ds_store_b128 v0, v[154:157] offset:352
	;; [unrolled: 1-line block ×3, first 2 shown]
	scratch_store_b32 off, v0, off offset:276 ; 4-byte Folded Spill
	ds_store_b128 v0, v[141:144] offset:704
	v_and_b32_e32 v0, 0xffff, v134
	s_delay_alu instid0(VALU_DEP_1) | instskip(NEXT) | instid1(VALU_DEP_1)
	v_mul_u32_u24_e32 v0, 55, v0
	v_add_lshl_u32 v0, v0, v135, 4
	ds_store_b128 v0, v[96:99]
	ds_store_b128 v0, v[165:168] offset:176
	ds_store_b128 v0, v[173:176] offset:352
	;; [unrolled: 1-line block ×3, first 2 shown]
	scratch_store_b32 off, v0, off offset:272 ; 4-byte Folded Spill
	ds_store_b128 v0, v[169:172] offset:704
	v_and_b32_e32 v0, 0xff, v136
	scratch_store_b32 off, v0, off offset:268 ; 4-byte Folded Spill
	s_and_saveexec_b32 s2, vcc_lo
	s_cbranch_execz .LBB0_5
; %bb.4:
	s_clause 0x1
	scratch_load_b32 v0, off, off offset:268
	scratch_load_b128 v[1:4], off, off offset:32
	v_add_f64_e32 v[94:95], v[94:95], v[130:131]
	v_add_f64_e32 v[92:93], v[92:93], v[110:111]
	s_delay_alu instid0(VALU_DEP_2) | instskip(NEXT) | instid1(VALU_DEP_2)
	v_add_f64_e32 v[94:95], v[94:95], v[126:127]
	v_add_f64_e32 v[92:93], v[92:93], v[124:125]
	s_delay_alu instid0(VALU_DEP_2) | instskip(NEXT) | instid1(VALU_DEP_2)
	v_add_f64_e32 v[94:95], v[94:95], v[108:109]
	v_add_f64_e32 v[92:93], v[92:93], v[128:129]
	s_delay_alu instid0(VALU_DEP_2) | instskip(NEXT) | instid1(VALU_DEP_2)
	v_add_f64_e32 v[94:95], v[94:95], v[106:107]
	v_add_f64_e32 v[92:93], v[92:93], v[104:105]
	s_wait_loadcnt 0x1
	v_lshlrev_b32_e32 v0, 4, v0
	s_wait_loadcnt 0x0
	ds_store_b128 v0, v[1:4] offset:9152
	scratch_load_b128 v[1:4], off, off offset:48 ; 16-byte Folded Reload
	s_wait_loadcnt 0x0
	ds_store_b128 v0, v[1:4] offset:9328
	ds_store_b128 v0, v[92:95] offset:8800
	scratch_load_b128 v[1:4], off, off      ; 16-byte Folded Reload
	s_wait_loadcnt 0x0
	ds_store_b128 v0, v[1:4] offset:8976
	scratch_load_b128 v[1:4], off, off offset:16 ; 16-byte Folded Reload
	s_wait_loadcnt 0x0
	ds_store_b128 v0, v[1:4] offset:9504
.LBB0_5:
	s_wait_alu 0xfffe
	s_or_b32 exec_lo, exec_lo, s2
	v_mad_co_u64_u32 v[140:141], null, 0xa0, v30, s[10:11]
	scratch_store_b32 off, v30, off offset:160 ; 4-byte Folded Spill
	global_wb scope:SCOPE_SE
	s_wait_storecnt_dscnt 0x0
	s_barrier_signal -1
	s_barrier_wait -1
	global_inv scope:SCOPE_SE
	s_mov_b32 s26, 0xf8bb580b
	s_clause 0x3
	global_load_b128 v[96:99], v[140:141], off offset:704
	global_load_b128 v[92:95], v[140:141], off offset:848
	global_load_b128 v[104:107], v[140:141], off offset:720
	global_load_b128 v[108:111], v[140:141], off offset:832
	ds_load_b128 v[128:131], v193 offset:880
	ds_load_b128 v[124:127], v193 offset:8800
	ds_load_b128 v[150:153], v193
	s_mov_b32 s14, 0x8eee2c13
	s_mov_b32 s16, 0x43842ef
	;; [unrolled: 1-line block ×20, first 2 shown]
	s_wait_alu 0xfffe
	s_mov_b32 s28, s2
	s_mov_b32 s31, 0x3fefac9e
	;; [unrolled: 1-line block ×7, first 2 shown]
	s_add_nc_u64 s[8:9], s[8:9], 0x25d0
	s_wait_loadcnt_dscnt 0x302
	v_mul_f64_e32 v[132:133], v[130:131], v[98:99]
	v_mul_f64_e32 v[134:135], v[128:129], v[98:99]
	s_wait_loadcnt_dscnt 0x201
	v_mul_f64_e32 v[138:139], v[126:127], v[94:95]
	v_mul_f64_e32 v[136:137], v[124:125], v[94:95]
	s_delay_alu instid0(VALU_DEP_4) | instskip(NEXT) | instid1(VALU_DEP_4)
	v_fma_f64 v[158:159], v[128:129], v[96:97], -v[132:133]
	v_fma_f64 v[165:166], v[130:131], v[96:97], v[134:135]
	ds_load_b128 v[128:131], v193 offset:1760
	ds_load_b128 v[132:135], v193 offset:2640
	v_fma_f64 v[202:203], v[124:125], v[92:93], -v[138:139]
	v_fma_f64 v[189:190], v[126:127], v[92:93], v[136:137]
	s_wait_loadcnt_dscnt 0x101
	v_mul_f64_e32 v[124:125], v[130:131], v[106:107]
	v_add_f64_e32 v[244:245], v[152:153], v[165:166]
	s_delay_alu instid0(VALU_DEP_4) | instskip(NEXT) | instid1(VALU_DEP_4)
	v_add_f64_e32 v[169:170], v[158:159], v[202:203]
	v_add_f64_e32 v[198:199], v[165:166], v[189:190]
	s_delay_alu instid0(VALU_DEP_4) | instskip(SKIP_1) | instid1(VALU_DEP_1)
	v_fma_f64 v[204:205], v[128:129], v[104:105], -v[124:125]
	v_mul_f64_e32 v[124:125], v[128:129], v[106:107]
	v_fma_f64 v[206:207], v[130:131], v[104:105], v[124:125]
	ds_load_b128 v[124:127], v193 offset:7920
	ds_load_b128 v[142:145], v193 offset:7040
	s_wait_loadcnt_dscnt 0x1
	v_mul_f64_e32 v[128:129], v[124:125], v[110:111]
	s_delay_alu instid0(VALU_DEP_1) | instskip(SKIP_1) | instid1(VALU_DEP_2)
	v_fma_f64 v[208:209], v[126:127], v[108:109], v[128:129]
	v_mul_f64_e32 v[126:127], v[126:127], v[110:111]
	v_add_f64_e32 v[191:192], v[206:207], v[208:209]
	s_delay_alu instid0(VALU_DEP_2)
	v_fma_f64 v[210:211], v[124:125], v[108:109], -v[126:127]
	s_clause 0x1
	global_load_b128 v[128:131], v[140:141], off offset:736
	global_load_b128 v[124:127], v[140:141], off offset:752
	v_add_f64_e32 v[254:255], v[204:205], v[210:211]
	s_wait_loadcnt 0x1
	v_mul_f64_e32 v[136:137], v[134:135], v[130:131]
	s_delay_alu instid0(VALU_DEP_1) | instskip(SKIP_1) | instid1(VALU_DEP_1)
	v_fma_f64 v[212:213], v[132:133], v[128:129], -v[136:137]
	v_mul_f64_e32 v[132:133], v[132:133], v[130:131]
	v_fma_f64 v[214:215], v[134:135], v[128:129], v[132:133]
	s_clause 0x1
	global_load_b128 v[136:139], v[140:141], off offset:816
	global_load_b128 v[132:135], v[140:141], off offset:800
	s_wait_loadcnt_dscnt 0x100
	v_mul_f64_e32 v[146:147], v[142:143], v[138:139]
	s_delay_alu instid0(VALU_DEP_1) | instskip(SKIP_1) | instid1(VALU_DEP_2)
	v_fma_f64 v[216:217], v[144:145], v[136:137], v[146:147]
	v_mul_f64_e32 v[144:145], v[144:145], v[138:139]
	v_add_f64_e32 v[10:11], v[214:215], v[216:217]
	s_delay_alu instid0(VALU_DEP_2)
	v_fma_f64 v[218:219], v[142:143], v[136:137], -v[144:145]
	ds_load_b128 v[142:145], v193 offset:3520
	ds_load_b128 v[154:157], v193 offset:4400
	s_wait_dscnt 0x1
	v_mul_f64_e32 v[146:147], v[144:145], v[126:127]
	v_add_f64_e64 v[8:9], v[212:213], -v[218:219]
	v_add_f64_e32 v[4:5], v[212:213], v[218:219]
	s_delay_alu instid0(VALU_DEP_3) | instskip(SKIP_1) | instid1(VALU_DEP_4)
	v_fma_f64 v[220:221], v[142:143], v[124:125], -v[146:147]
	v_mul_f64_e32 v[142:143], v[142:143], v[126:127]
	v_mul_f64_e32 v[12:13], s[16:17], v[8:9]
	s_wait_alu 0xfffe
	v_mul_f64_e32 v[148:149], s[28:29], v[8:9]
	v_mul_f64_e32 v[52:53], s[26:27], v[8:9]
	s_delay_alu instid0(VALU_DEP_4)
	v_fma_f64 v[222:223], v[144:145], v[124:125], v[142:143]
	ds_load_b128 v[142:145], v193 offset:6160
	ds_load_b128 v[161:164], v193 offset:5280
	v_fma_f64 v[14:15], v[10:11], s[22:23], -v[12:13]
	v_fma_f64 v[54:55], v[10:11], s[24:25], v[52:53]
	s_wait_loadcnt_dscnt 0x1
	v_mul_f64_e32 v[146:147], v[144:145], v[134:135]
	s_delay_alu instid0(VALU_DEP_1) | instskip(SKIP_1) | instid1(VALU_DEP_2)
	v_fma_f64 v[224:225], v[142:143], v[132:133], -v[146:147]
	v_mul_f64_e32 v[142:143], v[142:143], v[134:135]
	v_add_f64_e64 v[20:21], v[220:221], -v[224:225]
	s_delay_alu instid0(VALU_DEP_2)
	v_fma_f64 v[226:227], v[144:145], v[132:133], v[142:143]
	s_clause 0x1
	global_load_b128 v[144:147], v[140:141], off offset:768
	global_load_b128 v[140:143], v[140:141], off offset:784
	v_add_f64_e32 v[16:17], v[220:221], v[224:225]
	v_mul_f64_e32 v[24:25], s[10:11], v[20:21]
	v_add_f64_e32 v[22:23], v[222:223], v[226:227]
	s_delay_alu instid0(VALU_DEP_1) | instskip(SKIP_2) | instid1(VALU_DEP_1)
	v_fma_f64 v[26:27], v[22:23], s[18:19], -v[24:25]
	s_wait_loadcnt 0x1
	v_mul_f64_e32 v[167:168], v[156:157], v[146:147]
	v_fma_f64 v[228:229], v[154:155], v[144:145], -v[167:168]
	v_mul_f64_e32 v[154:155], v[154:155], v[146:147]
	s_delay_alu instid0(VALU_DEP_1) | instskip(SKIP_2) | instid1(VALU_DEP_1)
	v_fma_f64 v[230:231], v[156:157], v[144:145], v[154:155]
	s_wait_loadcnt_dscnt 0x0
	v_mul_f64_e32 v[154:155], v[163:164], v[142:143]
	v_fma_f64 v[232:233], v[161:162], v[140:141], -v[154:155]
	v_mul_f64_e32 v[154:155], v[161:162], v[142:143]
	s_delay_alu instid0(VALU_DEP_2) | instskip(NEXT) | instid1(VALU_DEP_2)
	v_add_f64_e64 v[32:33], v[228:229], -v[232:233]
	v_fma_f64 v[234:235], v[163:164], v[140:141], v[154:155]
	v_add_f64_e64 v[154:155], v[165:166], -v[189:190]
	v_add_f64_e32 v[28:29], v[228:229], v[232:233]
	s_delay_alu instid0(VALU_DEP_4) | instskip(NEXT) | instid1(VALU_DEP_4)
	v_mul_f64_e32 v[36:37], s[2:3], v[32:33]
	v_add_f64_e32 v[34:35], v[230:231], v[234:235]
	s_delay_alu instid0(VALU_DEP_4)
	v_mul_f64_e32 v[156:157], s[26:27], v[154:155]
	v_mul_f64_e32 v[161:162], s[14:15], v[154:155]
	v_mul_f64_e32 v[163:164], s[16:17], v[154:155]
	v_mul_f64_e32 v[167:168], s[10:11], v[154:155]
	v_mul_f64_e32 v[154:155], s[2:3], v[154:155]
	v_fma_f64 v[38:39], v[34:35], s[12:13], -v[36:37]
	v_fma_f64 v[171:172], v[169:170], s[24:25], -v[156:157]
	v_fma_f64 v[156:157], v[169:170], s[24:25], v[156:157]
	v_fma_f64 v[173:174], v[169:170], s[20:21], -v[161:162]
	v_fma_f64 v[161:162], v[169:170], s[20:21], v[161:162]
	;; [unrolled: 2-line block ×5, first 2 shown]
	v_add_f64_e64 v[169:170], v[158:159], -v[202:203]
	v_add_f64_e32 v[158:159], v[150:151], v[158:159]
	v_add_f64_e32 v[156:157], v[150:151], v[156:157]
	;; [unrolled: 1-line block ×5, first 2 shown]
	v_mul_f64_e32 v[181:182], s[26:27], v[169:170]
	v_mul_f64_e32 v[183:184], s[14:15], v[169:170]
	;; [unrolled: 1-line block ×5, first 2 shown]
	v_fma_f64 v[242:243], v[198:199], s[24:25], -v[181:182]
	v_fma_f64 v[181:182], v[198:199], s[24:25], v[181:182]
	v_fma_f64 v[200:201], v[198:199], s[20:21], v[183:184]
	v_fma_f64 v[183:184], v[198:199], s[20:21], -v[183:184]
	v_fma_f64 v[240:241], v[198:199], s[12:13], v[169:170]
	v_fma_f64 v[169:170], v[198:199], s[12:13], -v[169:170]
	;; [unrolled: 2-line block ×4, first 2 shown]
	v_add_f64_e32 v[198:199], v[150:151], v[171:172]
	v_add_f64_e32 v[171:172], v[150:151], v[173:174]
	;; [unrolled: 1-line block ×4, first 2 shown]
	v_add_f64_e64 v[181:182], v[204:205], -v[210:211]
	v_add_f64_e32 v[250:251], v[152:153], v[183:184]
	v_add_f64_e64 v[183:184], v[214:215], -v[216:217]
	v_add_f64_e32 v[248:249], v[152:153], v[169:170]
	;; [unrolled: 2-line block ×3, first 2 shown]
	v_add_f64_e32 v[200:201], v[150:151], v[161:162]
	v_add_f64_e32 v[161:162], v[150:151], v[175:176]
	;; [unrolled: 1-line block ×9, first 2 shown]
	v_mul_f64_e32 v[0:1], s[14:15], v[181:182]
	v_mul_f64_e32 v[40:41], s[10:11], v[181:182]
	;; [unrolled: 1-line block ×7, first 2 shown]
	v_fma_f64 v[2:3], v[191:192], s[20:21], -v[0:1]
	v_fma_f64 v[42:43], v[191:192], s[18:19], v[40:41]
	v_fma_f64 v[152:153], v[4:5], s[22:23], v[6:7]
	v_fma_f64 v[154:155], v[4:5], s[12:13], -v[196:197]
	v_fma_f64 v[150:151], v[254:255], s[20:21], v[194:195]
	v_fma_f64 v[122:123], v[4:5], s[20:21], -v[120:121]
	v_fma_f64 v[118:119], v[191:192], s[12:13], v[116:117]
	v_fma_f64 v[0:1], v[191:192], s[20:21], v[0:1]
	v_add_f64_e32 v[2:3], v[2:3], v[165:166]
	v_add_f64_e32 v[42:43], v[42:43], v[173:174]
	v_mul_f64_e32 v[173:174], s[34:35], v[181:182]
	v_add_f64_e32 v[150:151], v[150:151], v[156:157]
	v_add_f64_e32 v[118:119], v[118:119], v[175:176]
	v_mul_f64_e32 v[175:176], s[10:11], v[183:184]
	v_add_f64_e32 v[0:1], v[0:1], v[252:253]
	v_add_f64_e32 v[2:3], v[14:15], v[2:3]
	v_add_f64_e64 v[14:15], v[222:223], -v[226:227]
	v_add_f64_e32 v[150:151], v[152:153], v[150:151]
	s_delay_alu instid0(VALU_DEP_3) | instskip(NEXT) | instid1(VALU_DEP_3)
	v_add_f64_e32 v[2:3], v[26:27], v[2:3]
	v_mul_f64_e32 v[18:19], s[10:11], v[14:15]
	v_add_f64_e64 v[26:27], v[230:231], -v[234:235]
	v_mul_f64_e32 v[100:101], s[30:31], v[14:15]
	v_mul_f64_e32 v[44:45], s[26:27], v[14:15]
	;; [unrolled: 1-line block ×4, first 2 shown]
	v_fma_f64 v[152:153], v[16:17], s[18:19], v[18:19]
	v_mul_f64_e32 v[30:31], s[2:3], v[26:27]
	v_fma_f64 v[102:103], v[16:17], s[22:23], -v[100:101]
	v_mul_f64_e32 v[112:113], s[34:35], v[26:27]
	v_fma_f64 v[46:47], v[16:17], s[24:25], -v[44:45]
	;; [unrolled: 2-line block ×3, first 2 shown]
	v_mul_f64_e32 v[60:61], s[36:37], v[26:27]
	v_mul_f64_e32 v[26:27], s[16:17], v[26:27]
	v_add_f64_e32 v[150:151], v[152:153], v[150:151]
	v_fma_f64 v[152:153], v[28:29], s[12:13], v[30:31]
	v_fma_f64 v[114:115], v[28:29], s[24:25], -v[112:113]
	v_fma_f64 v[50:51], v[28:29], s[18:19], -v[48:49]
	;; [unrolled: 1-line block ×3, first 2 shown]
	s_delay_alu instid0(VALU_DEP_4) | instskip(SKIP_2) | instid1(VALU_DEP_1)
	v_add_f64_e32 v[150:151], v[152:153], v[150:151]
	v_add_f64_e32 v[152:153], v[38:39], v[2:3]
	v_mul_f64_e32 v[2:3], s[10:11], v[169:170]
	v_fma_f64 v[38:39], v[254:255], s[18:19], -v[2:3]
	v_fma_f64 v[2:3], v[254:255], s[18:19], v[2:3]
	s_delay_alu instid0(VALU_DEP_2) | instskip(SKIP_1) | instid1(VALU_DEP_3)
	v_add_f64_e32 v[38:39], v[38:39], v[171:172]
	v_fma_f64 v[171:172], v[4:5], s[18:19], -v[175:176]
	v_add_f64_e32 v[2:3], v[2:3], v[200:201]
	s_delay_alu instid0(VALU_DEP_3) | instskip(SKIP_1) | instid1(VALU_DEP_2)
	v_add_f64_e32 v[38:39], v[154:155], v[38:39]
	v_fma_f64 v[154:155], v[10:11], s[12:13], v[148:149]
	v_add_f64_e32 v[38:39], v[102:103], v[38:39]
	v_mul_f64_e32 v[102:103], s[30:31], v[20:21]
	s_delay_alu instid0(VALU_DEP_3) | instskip(NEXT) | instid1(VALU_DEP_2)
	v_add_f64_e32 v[42:43], v[154:155], v[42:43]
	v_fma_f64 v[154:155], v[22:23], s[22:23], v[102:103]
	s_delay_alu instid0(VALU_DEP_1) | instskip(SKIP_2) | instid1(VALU_DEP_1)
	v_add_f64_e32 v[42:43], v[154:155], v[42:43]
	v_add_f64_e32 v[154:155], v[114:115], v[38:39]
	v_mul_f64_e32 v[38:39], s[34:35], v[32:33]
	v_fma_f64 v[114:115], v[34:35], s[24:25], v[38:39]
	s_delay_alu instid0(VALU_DEP_1) | instskip(SKIP_1) | instid1(VALU_DEP_1)
	v_add_f64_e32 v[156:157], v[114:115], v[42:43]
	v_mul_f64_e32 v[42:43], s[28:29], v[169:170]
	v_fma_f64 v[114:115], v[254:255], s[12:13], -v[42:43]
	s_delay_alu instid0(VALU_DEP_1) | instskip(NEXT) | instid1(VALU_DEP_1)
	v_add_f64_e32 v[114:115], v[114:115], v[161:162]
	v_add_f64_e32 v[114:115], v[122:123], v[114:115]
	v_mul_f64_e32 v[122:123], s[36:37], v[8:9]
	v_mul_f64_e32 v[8:9], s[10:11], v[8:9]
	s_delay_alu instid0(VALU_DEP_3) | instskip(NEXT) | instid1(VALU_DEP_3)
	v_add_f64_e32 v[46:47], v[46:47], v[114:115]
	v_fma_f64 v[161:162], v[10:11], s[20:21], v[122:123]
	v_mul_f64_e32 v[114:115], s[26:27], v[20:21]
	s_delay_alu instid0(VALU_DEP_2) | instskip(NEXT) | instid1(VALU_DEP_2)
	v_add_f64_e32 v[118:119], v[161:162], v[118:119]
	v_fma_f64 v[161:162], v[22:23], s[24:25], v[114:115]
	s_delay_alu instid0(VALU_DEP_1) | instskip(SKIP_2) | instid1(VALU_DEP_1)
	v_add_f64_e32 v[118:119], v[161:162], v[118:119]
	v_add_f64_e32 v[161:162], v[50:51], v[46:47]
	v_mul_f64_e32 v[46:47], s[10:11], v[32:33]
	v_fma_f64 v[50:51], v[34:35], s[18:19], v[46:47]
	s_delay_alu instid0(VALU_DEP_1) | instskip(SKIP_1) | instid1(VALU_DEP_1)
	v_add_f64_e32 v[163:164], v[50:51], v[118:119]
	v_mul_f64_e32 v[50:51], s[30:31], v[169:170]
	v_fma_f64 v[118:119], v[254:255], s[22:23], -v[50:51]
	s_delay_alu instid0(VALU_DEP_1) | instskip(SKIP_1) | instid1(VALU_DEP_1)
	v_add_f64_e32 v[118:119], v[118:119], v[177:178]
	v_mul_f64_e32 v[177:178], s[30:31], v[181:182]
	v_fma_f64 v[165:166], v[191:192], s[22:23], v[177:178]
	s_delay_alu instid0(VALU_DEP_1) | instskip(SKIP_1) | instid1(VALU_DEP_2)
	v_add_f64_e32 v[165:166], v[165:166], v[238:239]
	v_mul_f64_e32 v[238:239], s[26:27], v[183:184]
	v_add_f64_e32 v[54:55], v[54:55], v[165:166]
	s_delay_alu instid0(VALU_DEP_2) | instskip(NEXT) | instid1(VALU_DEP_1)
	v_fma_f64 v[167:168], v[4:5], s[24:25], -v[238:239]
	v_add_f64_e32 v[118:119], v[167:168], v[118:119]
	s_delay_alu instid0(VALU_DEP_1) | instskip(SKIP_2) | instid1(VALU_DEP_2)
	v_add_f64_e32 v[58:59], v[58:59], v[118:119]
	v_mul_f64_e32 v[118:119], s[2:3], v[20:21]
	v_mul_f64_e32 v[20:21], s[36:37], v[20:21]
	v_fma_f64 v[165:166], v[22:23], s[12:13], v[118:119]
	s_delay_alu instid0(VALU_DEP_1) | instskip(SKIP_3) | instid1(VALU_DEP_2)
	v_add_f64_e32 v[54:55], v[165:166], v[54:55]
	v_add_f64_e32 v[165:166], v[62:63], v[58:59]
	v_mul_f64_e32 v[58:59], s[36:37], v[32:33]
	v_mul_f64_e32 v[32:33], s[16:17], v[32:33]
	v_fma_f64 v[62:63], v[34:35], s[20:21], v[58:59]
	s_delay_alu instid0(VALU_DEP_1) | instskip(SKIP_2) | instid1(VALU_DEP_2)
	v_add_f64_e32 v[167:168], v[62:63], v[54:55]
	v_mul_f64_e32 v[54:55], s[34:35], v[169:170]
	v_fma_f64 v[169:170], v[191:192], s[24:25], v[173:174]
	v_fma_f64 v[62:63], v[254:255], s[24:25], -v[54:55]
	s_delay_alu instid0(VALU_DEP_2) | instskip(SKIP_1) | instid1(VALU_DEP_3)
	v_add_f64_e32 v[169:170], v[169:170], v[240:241]
	v_fma_f64 v[54:55], v[254:255], s[24:25], v[54:55]
	v_add_f64_e32 v[62:63], v[62:63], v[179:180]
	s_delay_alu instid0(VALU_DEP_2) | instskip(NEXT) | instid1(VALU_DEP_2)
	v_add_f64_e32 v[54:55], v[54:55], v[246:247]
	v_add_f64_e32 v[62:63], v[171:172], v[62:63]
	v_fma_f64 v[171:172], v[10:11], s[18:19], v[8:9]
	v_fma_f64 v[8:9], v[10:11], s[18:19], -v[8:9]
	s_delay_alu instid0(VALU_DEP_2) | instskip(SKIP_2) | instid1(VALU_DEP_2)
	v_add_f64_e32 v[169:170], v[171:172], v[169:170]
	v_fma_f64 v[171:172], v[16:17], s[20:21], -v[14:15]
	v_fma_f64 v[14:15], v[16:17], s[20:21], v[14:15]
	v_add_f64_e32 v[62:63], v[171:172], v[62:63]
	v_fma_f64 v[171:172], v[22:23], s[20:21], v[20:21]
	v_fma_f64 v[20:21], v[22:23], s[20:21], -v[20:21]
	s_delay_alu instid0(VALU_DEP_2) | instskip(SKIP_1) | instid1(VALU_DEP_1)
	v_add_f64_e32 v[171:172], v[171:172], v[169:170]
	v_fma_f64 v[169:170], v[28:29], s[22:23], -v[26:27]
	v_add_f64_e32 v[169:170], v[169:170], v[62:63]
	v_fma_f64 v[62:63], v[34:35], s[22:23], v[32:33]
	s_delay_alu instid0(VALU_DEP_1) | instskip(SKIP_2) | instid1(VALU_DEP_2)
	v_add_f64_e32 v[171:172], v[62:63], v[171:172]
	v_fma_f64 v[62:63], v[191:192], s[24:25], -v[173:174]
	v_fma_f64 v[173:174], v[4:5], s[18:19], v[175:176]
	v_add_f64_e32 v[62:63], v[62:63], v[248:249]
	s_delay_alu instid0(VALU_DEP_2) | instskip(NEXT) | instid1(VALU_DEP_2)
	v_add_f64_e32 v[54:55], v[173:174], v[54:55]
	v_add_f64_e32 v[8:9], v[8:9], v[62:63]
	s_delay_alu instid0(VALU_DEP_2) | instskip(NEXT) | instid1(VALU_DEP_2)
	v_add_f64_e32 v[14:15], v[14:15], v[54:55]
	v_add_f64_e32 v[8:9], v[20:21], v[8:9]
	v_fma_f64 v[20:21], v[28:29], s[22:23], v[26:27]
	v_fma_f64 v[26:27], v[34:35], s[22:23], -v[32:33]
	s_delay_alu instid0(VALU_DEP_2) | instskip(NEXT) | instid1(VALU_DEP_2)
	v_add_f64_e32 v[173:174], v[20:21], v[14:15]
	v_add_f64_e32 v[175:176], v[26:27], v[8:9]
	v_fma_f64 v[8:9], v[254:255], s[22:23], v[50:51]
	v_fma_f64 v[14:15], v[191:192], s[22:23], -v[177:178]
	v_fma_f64 v[20:21], v[4:5], s[24:25], v[238:239]
	v_fma_f64 v[26:27], v[34:35], s[20:21], -v[58:59]
	s_delay_alu instid0(VALU_DEP_4) | instskip(NEXT) | instid1(VALU_DEP_4)
	v_add_f64_e32 v[8:9], v[8:9], v[242:243]
	v_add_f64_e32 v[14:15], v[14:15], v[187:188]
	s_delay_alu instid0(VALU_DEP_2) | instskip(SKIP_1) | instid1(VALU_DEP_1)
	v_add_f64_e32 v[8:9], v[20:21], v[8:9]
	v_fma_f64 v[20:21], v[10:11], s[24:25], -v[52:53]
	v_add_f64_e32 v[14:15], v[20:21], v[14:15]
	v_fma_f64 v[20:21], v[16:17], s[12:13], v[56:57]
	s_delay_alu instid0(VALU_DEP_1) | instskip(SKIP_1) | instid1(VALU_DEP_1)
	v_add_f64_e32 v[8:9], v[20:21], v[8:9]
	v_fma_f64 v[20:21], v[22:23], s[12:13], -v[118:119]
	v_add_f64_e32 v[14:15], v[20:21], v[14:15]
	v_fma_f64 v[20:21], v[28:29], s[20:21], v[60:61]
	s_delay_alu instid0(VALU_DEP_2) | instskip(NEXT) | instid1(VALU_DEP_2)
	v_add_f64_e32 v[179:180], v[26:27], v[14:15]
	v_add_f64_e32 v[177:178], v[20:21], v[8:9]
	v_fma_f64 v[8:9], v[254:255], s[12:13], v[42:43]
	v_fma_f64 v[14:15], v[191:192], s[12:13], -v[116:117]
	v_fma_f64 v[20:21], v[4:5], s[20:21], v[120:121]
	v_fma_f64 v[26:27], v[34:35], s[18:19], -v[46:47]
	s_delay_alu instid0(VALU_DEP_4) | instskip(NEXT) | instid1(VALU_DEP_4)
	v_add_f64_e32 v[8:9], v[8:9], v[236:237]
	v_add_f64_e32 v[14:15], v[14:15], v[185:186]
	s_delay_alu instid0(VALU_DEP_2) | instskip(SKIP_1) | instid1(VALU_DEP_1)
	v_add_f64_e32 v[8:9], v[20:21], v[8:9]
	v_fma_f64 v[20:21], v[10:11], s[20:21], -v[122:123]
	v_add_f64_e32 v[14:15], v[20:21], v[14:15]
	v_fma_f64 v[20:21], v[16:17], s[24:25], v[44:45]
	s_delay_alu instid0(VALU_DEP_1) | instskip(SKIP_1) | instid1(VALU_DEP_1)
	v_add_f64_e32 v[8:9], v[20:21], v[8:9]
	v_fma_f64 v[20:21], v[22:23], s[24:25], -v[114:115]
	v_add_f64_e32 v[14:15], v[20:21], v[14:15]
	v_fma_f64 v[20:21], v[28:29], s[18:19], v[48:49]
	s_delay_alu instid0(VALU_DEP_2) | instskip(NEXT) | instid1(VALU_DEP_2)
	v_add_f64_e32 v[183:184], v[26:27], v[14:15]
	v_add_f64_e32 v[181:182], v[20:21], v[8:9]
	v_fma_f64 v[8:9], v[191:192], s[18:19], -v[40:41]
	v_fma_f64 v[14:15], v[4:5], s[12:13], v[196:197]
	v_fma_f64 v[20:21], v[34:35], s[24:25], -v[38:39]
	v_fma_f64 v[4:5], v[4:5], s[22:23], -v[6:7]
	v_fma_f64 v[6:7], v[10:11], s[22:23], v[12:13]
	v_add_f64_e32 v[8:9], v[8:9], v[250:251]
	v_add_f64_e32 v[2:3], v[14:15], v[2:3]
	v_fma_f64 v[14:15], v[10:11], s[12:13], -v[148:149]
	v_fma_f64 v[10:11], v[22:23], s[18:19], v[24:25]
	v_add_f64_e32 v[0:1], v[6:7], v[0:1]
	v_fma_f64 v[6:7], v[34:35], s[12:13], v[36:37]
	s_delay_alu instid0(VALU_DEP_4) | instskip(SKIP_1) | instid1(VALU_DEP_4)
	v_add_f64_e32 v[8:9], v[14:15], v[8:9]
	v_fma_f64 v[14:15], v[16:17], s[22:23], v[100:101]
	v_add_f64_e32 v[0:1], v[10:11], v[0:1]
	s_delay_alu instid0(VALU_DEP_2) | instskip(SKIP_1) | instid1(VALU_DEP_3)
	v_add_f64_e32 v[2:3], v[14:15], v[2:3]
	v_fma_f64 v[14:15], v[22:23], s[22:23], -v[102:103]
	v_add_f64_e32 v[200:201], v[6:7], v[0:1]
	v_add_f64_e32 v[0:1], v[158:159], v[204:205]
	s_delay_alu instid0(VALU_DEP_3) | instskip(SKIP_1) | instid1(VALU_DEP_3)
	v_add_f64_e32 v[8:9], v[14:15], v[8:9]
	v_fma_f64 v[14:15], v[28:29], s[24:25], v[112:113]
	v_add_f64_e32 v[0:1], v[0:1], v[212:213]
	s_delay_alu instid0(VALU_DEP_3) | instskip(NEXT) | instid1(VALU_DEP_3)
	v_add_f64_e32 v[187:188], v[20:21], v[8:9]
	v_add_f64_e32 v[185:186], v[14:15], v[2:3]
	v_fma_f64 v[2:3], v[254:255], s[20:21], -v[194:195]
	v_fma_f64 v[8:9], v[16:17], s[18:19], -v[18:19]
	v_add_f64_e32 v[0:1], v[0:1], v[220:221]
	s_delay_alu instid0(VALU_DEP_3) | instskip(NEXT) | instid1(VALU_DEP_2)
	v_add_f64_e32 v[2:3], v[2:3], v[198:199]
	v_add_f64_e32 v[0:1], v[0:1], v[228:229]
	s_delay_alu instid0(VALU_DEP_2) | instskip(SKIP_1) | instid1(VALU_DEP_3)
	v_add_f64_e32 v[2:3], v[4:5], v[2:3]
	v_fma_f64 v[4:5], v[28:29], s[12:13], -v[30:31]
	v_add_f64_e32 v[0:1], v[0:1], v[232:233]
	s_delay_alu instid0(VALU_DEP_3) | instskip(NEXT) | instid1(VALU_DEP_2)
	v_add_f64_e32 v[2:3], v[8:9], v[2:3]
	v_add_f64_e32 v[0:1], v[0:1], v[224:225]
	s_delay_alu instid0(VALU_DEP_2) | instskip(SKIP_1) | instid1(VALU_DEP_3)
	v_add_f64_e32 v[198:199], v[4:5], v[2:3]
	v_add_f64_e32 v[2:3], v[244:245], v[206:207]
	;; [unrolled: 1-line block ×3, first 2 shown]
	s_delay_alu instid0(VALU_DEP_2) | instskip(NEXT) | instid1(VALU_DEP_2)
	v_add_f64_e32 v[2:3], v[2:3], v[214:215]
	v_add_f64_e32 v[0:1], v[0:1], v[210:211]
	s_delay_alu instid0(VALU_DEP_2) | instskip(NEXT) | instid1(VALU_DEP_2)
	v_add_f64_e32 v[2:3], v[2:3], v[222:223]
	v_add_f64_e32 v[202:203], v[0:1], v[202:203]
	s_delay_alu instid0(VALU_DEP_2) | instskip(NEXT) | instid1(VALU_DEP_1)
	v_add_f64_e32 v[2:3], v[2:3], v[230:231]
	v_add_f64_e32 v[2:3], v[2:3], v[234:235]
	s_delay_alu instid0(VALU_DEP_1) | instskip(NEXT) | instid1(VALU_DEP_1)
	v_add_f64_e32 v[2:3], v[2:3], v[226:227]
	v_add_f64_e32 v[2:3], v[2:3], v[216:217]
	s_delay_alu instid0(VALU_DEP_1) | instskip(NEXT) | instid1(VALU_DEP_1)
	v_add_f64_e32 v[2:3], v[2:3], v[208:209]
	v_add_f64_e32 v[204:205], v[2:3], v[189:190]
	ds_store_b128 v193, v[154:157] offset:1760
	ds_store_b128 v193, v[161:164] offset:2640
	;; [unrolled: 1-line block ×10, first 2 shown]
	ds_store_b128 v193, v[202:205]
	global_wb scope:SCOPE_SE
	s_wait_dscnt 0x0
	s_barrier_signal -1
	s_barrier_wait -1
	global_inv scope:SCOPE_SE
	scratch_load_b64 v[0:1], off, off offset:280 th:TH_LOAD_LU ; 8-byte Folded Reload
	s_wait_loadcnt 0x0
	global_load_b128 v[148:151], v[0:1], off offset:9680
	ds_load_b128 v[152:155], v193
	ds_load_b128 v[156:159], v193 offset:880
	global_load_b128 v[161:164], v193, s[8:9] offset:880
	ds_load_b128 v[165:168], v193 offset:8800
	s_wait_loadcnt_dscnt 0x102
	v_mul_f64_e32 v[0:1], v[154:155], v[150:151]
	v_mul_f64_e32 v[2:3], v[152:153], v[150:151]
	s_delay_alu instid0(VALU_DEP_2) | instskip(NEXT) | instid1(VALU_DEP_2)
	v_fma_f64 v[150:151], v[152:153], v[148:149], -v[0:1]
	v_fma_f64 v[152:153], v[154:155], v[148:149], v[2:3]
	s_wait_loadcnt_dscnt 0x1
	v_mul_f64_e32 v[0:1], v[158:159], v[163:164]
	v_mul_f64_e32 v[2:3], v[156:157], v[163:164]
	s_delay_alu instid0(VALU_DEP_2) | instskip(NEXT) | instid1(VALU_DEP_2)
	v_fma_f64 v[154:155], v[156:157], v[161:162], -v[0:1]
	v_fma_f64 v[156:157], v[158:159], v[161:162], v[2:3]
	s_clause 0x1
	global_load_b128 v[161:164], v193, s[8:9] offset:1760
	global_load_b128 v[169:172], v193, s[8:9] offset:2640
	ds_load_b128 v[173:176], v193 offset:1760
	ds_load_b128 v[177:180], v193 offset:2640
	s_wait_loadcnt_dscnt 0x101
	v_mul_f64_e32 v[0:1], v[175:176], v[163:164]
	v_mul_f64_e32 v[2:3], v[173:174], v[163:164]
	s_delay_alu instid0(VALU_DEP_2) | instskip(NEXT) | instid1(VALU_DEP_2)
	v_fma_f64 v[173:174], v[173:174], v[161:162], -v[0:1]
	v_fma_f64 v[175:176], v[175:176], v[161:162], v[2:3]
	s_wait_loadcnt_dscnt 0x0
	v_mul_f64_e32 v[0:1], v[179:180], v[171:172]
	v_mul_f64_e32 v[2:3], v[177:178], v[171:172]
	s_delay_alu instid0(VALU_DEP_2) | instskip(NEXT) | instid1(VALU_DEP_2)
	v_fma_f64 v[161:162], v[177:178], v[169:170], -v[0:1]
	v_fma_f64 v[163:164], v[179:180], v[169:170], v[2:3]
	s_clause 0x1
	global_load_b128 v[169:172], v193, s[8:9] offset:3520
	global_load_b128 v[177:180], v193, s[8:9] offset:4400
	ds_load_b128 v[181:184], v193 offset:3520
	;; [unrolled: 17-line block ×4, first 2 shown]
	ds_load_b128 v[210:213], v193 offset:7920
	s_wait_loadcnt_dscnt 0x101
	v_mul_f64_e32 v[0:1], v[208:209], v[187:188]
	v_mul_f64_e32 v[2:3], v[206:207], v[187:188]
	s_delay_alu instid0(VALU_DEP_2) | instskip(SKIP_2) | instid1(VALU_DEP_3)
	v_fma_f64 v[187:188], v[206:207], v[185:186], -v[0:1]
	s_wait_loadcnt_dscnt 0x0
	v_mul_f64_e32 v[0:1], v[212:213], v[204:205]
	v_fma_f64 v[189:190], v[208:209], v[185:186], v[2:3]
	v_mul_f64_e32 v[2:3], v[210:211], v[204:205]
	s_delay_alu instid0(VALU_DEP_3)
	v_fma_f64 v[204:205], v[210:211], v[202:203], -v[0:1]
	global_load_b128 v[208:211], v193, s[8:9] offset:8800
	v_fma_f64 v[206:207], v[212:213], v[202:203], v[2:3]
	s_mov_b32 s9, 0x3fe82f19
	s_mov_b32 s8, s10
	s_wait_loadcnt 0x0
	v_mul_f64_e32 v[0:1], v[167:168], v[210:211]
	v_mul_f64_e32 v[2:3], v[165:166], v[210:211]
	s_delay_alu instid0(VALU_DEP_2) | instskip(NEXT) | instid1(VALU_DEP_2)
	v_fma_f64 v[165:166], v[165:166], v[208:209], -v[0:1]
	v_fma_f64 v[167:168], v[167:168], v[208:209], v[2:3]
	ds_store_b128 v193, v[150:153]
	ds_store_b128 v193, v[154:157] offset:880
	ds_store_b128 v193, v[173:176] offset:1760
	;; [unrolled: 1-line block ×10, first 2 shown]
	global_wb scope:SCOPE_SE
	s_wait_dscnt 0x0
	s_barrier_signal -1
	s_barrier_wait -1
	global_inv scope:SCOPE_SE
	ds_load_b128 v[148:151], v193
	ds_load_b128 v[152:155], v193 offset:880
	ds_load_b128 v[156:159], v193 offset:1760
	;; [unrolled: 1-line block ×7, first 2 shown]
	s_wait_dscnt 0x6
	v_add_f64_e32 v[0:1], v[148:149], v[152:153]
	v_add_f64_e32 v[2:3], v[150:151], v[154:155]
	s_wait_dscnt 0x1
	v_add_f64_e32 v[4:5], v[169:170], v[173:174]
	v_add_f64_e32 v[6:7], v[171:172], v[175:176]
	v_add_f64_e64 v[8:9], v[169:170], -v[173:174]
	v_add_f64_e64 v[10:11], v[171:172], -v[175:176]
	s_wait_dscnt 0x0
	v_add_f64_e32 v[12:13], v[165:166], v[177:178]
	v_add_f64_e32 v[14:15], v[167:168], v[179:180]
	v_add_f64_e64 v[16:17], v[167:168], -v[179:180]
	v_add_f64_e64 v[18:19], v[165:166], -v[177:178]
	v_add_f64_e32 v[0:1], v[0:1], v[156:157]
	v_add_f64_e32 v[2:3], v[2:3], v[158:159]
	v_mul_f64_e32 v[185:186], s[34:35], v[10:11]
	v_mul_f64_e32 v[194:195], s[10:11], v[10:11]
	;; [unrolled: 1-line block ×11, first 2 shown]
	v_add_f64_e32 v[0:1], v[0:1], v[161:162]
	v_add_f64_e32 v[2:3], v[2:3], v[163:164]
	s_delay_alu instid0(VALU_DEP_2) | instskip(NEXT) | instid1(VALU_DEP_2)
	v_add_f64_e32 v[0:1], v[0:1], v[165:166]
	v_add_f64_e32 v[2:3], v[2:3], v[167:168]
	s_delay_alu instid0(VALU_DEP_2) | instskip(NEXT) | instid1(VALU_DEP_2)
	v_add_f64_e32 v[0:1], v[0:1], v[169:170]
	v_add_f64_e32 v[2:3], v[2:3], v[171:172]
	ds_load_b128 v[165:168], v193 offset:7040
	ds_load_b128 v[169:172], v193 offset:7920
	s_wait_dscnt 0x1
	v_add_f64_e64 v[20:21], v[163:164], -v[167:168]
	s_wait_dscnt 0x0
	v_add_f64_e64 v[28:29], v[158:159], -v[171:172]
	v_add_f64_e32 v[30:31], v[158:159], v[171:172]
	v_add_f64_e32 v[32:33], v[156:157], v[169:170]
	v_add_f64_e64 v[34:35], v[156:157], -v[169:170]
	ds_load_b128 v[156:159], v193 offset:8800
	v_add_f64_e32 v[24:25], v[161:162], v[165:166]
	v_add_f64_e32 v[22:23], v[163:164], v[167:168]
	v_add_f64_e64 v[26:27], v[161:162], -v[165:166]
	global_wb scope:SCOPE_SE
	s_wait_dscnt 0x0
	s_barrier_signal -1
	s_barrier_wait -1
	global_inv scope:SCOPE_SE
	v_add_f64_e32 v[0:1], v[0:1], v[173:174]
	v_add_f64_e32 v[2:3], v[2:3], v[175:176]
	v_add_f64_e64 v[36:37], v[154:155], -v[158:159]
	v_add_f64_e32 v[38:39], v[154:155], v[158:159]
	v_add_f64_e32 v[40:41], v[152:153], v[156:157]
	v_add_f64_e64 v[42:43], v[152:153], -v[156:157]
	v_mul_f64_e32 v[183:184], s[36:37], v[20:21]
	v_mul_f64_e32 v[175:176], s[10:11], v[20:21]
	;; [unrolled: 1-line block ×7, first 2 shown]
	v_add_f64_e32 v[0:1], v[0:1], v[177:178]
	v_add_f64_e32 v[2:3], v[2:3], v[179:180]
	v_mul_f64_e32 v[177:178], s[22:23], v[30:31]
	v_mul_f64_e32 v[179:180], s[26:27], v[20:21]
	;; [unrolled: 1-line block ×7, first 2 shown]
	v_add_f64_e32 v[0:1], v[0:1], v[165:166]
	v_add_f64_e32 v[2:3], v[2:3], v[167:168]
	v_fma_f64 v[52:53], v[40:41], s[22:23], v[44:45]
	v_fma_f64 v[44:45], v[40:41], s[22:23], -v[44:45]
	v_fma_f64 v[54:55], v[40:41], s[18:19], v[46:47]
	v_fma_f64 v[46:47], v[40:41], s[18:19], -v[46:47]
	v_fma_f64 v[102:103], v[42:43], s[30:31], v[58:59]
	v_fma_f64 v[58:59], v[42:43], s[16:17], v[58:59]
	s_wait_alu 0xfffe
	v_fma_f64 v[112:113], v[42:43], s[8:9], v[60:61]
	v_fma_f64 v[60:61], v[42:43], s[10:11], v[60:61]
	;; [unrolled: 1-line block ×4, first 2 shown]
	v_add_f64_e32 v[0:1], v[0:1], v[169:170]
	v_add_f64_e32 v[2:3], v[2:3], v[171:172]
	;; [unrolled: 1-line block ×14, first 2 shown]
	v_mul_f64_e32 v[0:1], s[26:27], v[36:37]
	v_mul_f64_e32 v[2:3], s[14:15], v[36:37]
	;; [unrolled: 1-line block ×3, first 2 shown]
	s_delay_alu instid0(VALU_DEP_3) | instskip(SKIP_1) | instid1(VALU_DEP_4)
	v_fma_f64 v[48:49], v[40:41], s[24:25], v[0:1]
	v_fma_f64 v[0:1], v[40:41], s[24:25], -v[0:1]
	v_fma_f64 v[50:51], v[40:41], s[20:21], v[2:3]
	v_fma_f64 v[2:3], v[40:41], s[20:21], -v[2:3]
	;; [unrolled: 2-line block ×3, first 2 shown]
	v_mul_f64_e32 v[40:41], s[20:21], v[38:39]
	v_mul_f64_e32 v[38:39], s[24:25], v[38:39]
	v_add_f64_e32 v[0:1], v[148:149], v[0:1]
	v_add_f64_e32 v[50:51], v[148:149], v[50:51]
	;; [unrolled: 1-line block ×5, first 2 shown]
	v_fma_f64 v[100:101], v[42:43], s[36:37], v[40:41]
	v_fma_f64 v[116:117], v[42:43], s[26:27], v[38:39]
	;; [unrolled: 1-line block ×4, first 2 shown]
	v_add_f64_e32 v[42:43], v[148:149], v[48:49]
	v_add_f64_e32 v[100:101], v[150:151], v[100:101]
	;; [unrolled: 1-line block ×3, first 2 shown]
	v_mul_f64_e32 v[116:117], s[10:11], v[28:29]
	v_add_f64_e32 v[40:41], v[150:151], v[40:41]
	v_add_f64_e32 v[38:39], v[150:151], v[38:39]
	s_delay_alu instid0(VALU_DEP_3) | instskip(NEXT) | instid1(VALU_DEP_1)
	v_fma_f64 v[118:119], v[32:33], s[18:19], v[116:117]
	v_add_f64_e32 v[50:51], v[118:119], v[50:51]
	v_mul_f64_e32 v[118:119], s[18:19], v[30:31]
	v_mul_f64_e32 v[30:31], s[20:21], v[30:31]
	s_delay_alu instid0(VALU_DEP_2) | instskip(NEXT) | instid1(VALU_DEP_1)
	v_fma_f64 v[120:121], v[34:35], s[8:9], v[118:119]
	v_add_f64_e32 v[100:101], v[120:121], v[100:101]
	v_mul_f64_e32 v[120:121], s[28:29], v[20:21]
	v_mul_f64_e32 v[20:21], s[16:17], v[20:21]
	s_delay_alu instid0(VALU_DEP_2) | instskip(NEXT) | instid1(VALU_DEP_1)
	;; [unrolled: 5-line block ×5, first 2 shown]
	v_fma_f64 v[156:157], v[18:19], s[16:17], v[150:151]
	v_add_f64_e32 v[100:101], v[156:157], v[100:101]
	v_fma_f64 v[156:157], v[4:5], s[24:25], v[185:186]
	s_delay_alu instid0(VALU_DEP_1) | instskip(SKIP_1) | instid1(VALU_DEP_1)
	v_add_f64_e32 v[156:157], v[156:157], v[50:51]
	v_mul_f64_e32 v[50:51], s[24:25], v[6:7]
	v_fma_f64 v[158:159], v[8:9], s[26:27], v[50:51]
	s_delay_alu instid0(VALU_DEP_1) | instskip(SKIP_1) | instid1(VALU_DEP_1)
	v_add_f64_e32 v[158:159], v[158:159], v[100:101]
	v_mul_f64_e32 v[100:101], s[28:29], v[28:29]
	v_fma_f64 v[161:162], v[32:33], s[12:13], v[100:101]
	s_delay_alu instid0(VALU_DEP_1) | instskip(SKIP_1) | instid1(VALU_DEP_1)
	v_add_f64_e32 v[52:53], v[161:162], v[52:53]
	v_fma_f64 v[161:162], v[34:35], s[2:3], v[181:182]
	v_add_f64_e32 v[102:103], v[161:162], v[102:103]
	v_fma_f64 v[161:162], v[24:25], s[20:21], v[183:184]
	s_delay_alu instid0(VALU_DEP_1) | instskip(SKIP_1) | instid1(VALU_DEP_1)
	v_add_f64_e32 v[52:53], v[161:162], v[52:53]
	v_fma_f64 v[161:162], v[26:27], s[14:15], v[187:188]
	v_add_f64_e32 v[102:103], v[161:162], v[102:103]
	;; [unrolled: 5-line block ×3, first 2 shown]
	v_fma_f64 v[161:162], v[4:5], s[18:19], v[194:195]
	s_delay_alu instid0(VALU_DEP_1) | instskip(SKIP_1) | instid1(VALU_DEP_1)
	v_add_f64_e32 v[161:162], v[161:162], v[52:53]
	v_mul_f64_e32 v[52:53], s[18:19], v[6:7]
	v_fma_f64 v[163:164], v[8:9], s[8:9], v[52:53]
	v_fma_f64 v[52:53], v[8:9], s[10:11], v[52:53]
	s_delay_alu instid0(VALU_DEP_2) | instskip(SKIP_1) | instid1(VALU_DEP_1)
	v_add_f64_e32 v[163:164], v[163:164], v[102:103]
	v_mul_f64_e32 v[102:103], s[30:31], v[28:29]
	v_fma_f64 v[165:166], v[32:33], s[22:23], v[102:103]
	s_delay_alu instid0(VALU_DEP_1) | instskip(SKIP_1) | instid1(VALU_DEP_1)
	v_add_f64_e32 v[54:55], v[165:166], v[54:55]
	v_fma_f64 v[165:166], v[34:35], s[16:17], v[177:178]
	v_add_f64_e32 v[112:113], v[165:166], v[112:113]
	v_fma_f64 v[165:166], v[24:25], s[24:25], v[179:180]
	s_delay_alu instid0(VALU_DEP_1) | instskip(SKIP_1) | instid1(VALU_DEP_1)
	v_add_f64_e32 v[54:55], v[165:166], v[54:55]
	v_fma_f64 v[165:166], v[26:27], s[34:35], v[196:197]
	v_add_f64_e32 v[112:113], v[165:166], v[112:113]
	;; [unrolled: 5-line block ×3, first 2 shown]
	v_fma_f64 v[165:166], v[4:5], s[20:21], v[202:203]
	s_delay_alu instid0(VALU_DEP_1) | instskip(SKIP_1) | instid1(VALU_DEP_1)
	v_add_f64_e32 v[165:166], v[165:166], v[54:55]
	v_mul_f64_e32 v[54:55], s[20:21], v[6:7]
	v_fma_f64 v[167:168], v[8:9], s[14:15], v[54:55]
	v_fma_f64 v[54:55], v[8:9], s[36:37], v[54:55]
	s_delay_alu instid0(VALU_DEP_2) | instskip(SKIP_1) | instid1(VALU_DEP_1)
	v_add_f64_e32 v[167:168], v[167:168], v[112:113]
	v_mul_f64_e32 v[112:113], s[34:35], v[28:29]
	v_fma_f64 v[169:170], v[32:33], s[24:25], v[112:113]
	v_fma_f64 v[112:113], v[32:33], s[24:25], -v[112:113]
	s_delay_alu instid0(VALU_DEP_2) | instskip(SKIP_1) | instid1(VALU_DEP_3)
	v_add_f64_e32 v[56:57], v[169:170], v[56:57]
	v_fma_f64 v[169:170], v[34:35], s[26:27], v[173:174]
	v_add_f64_e32 v[36:37], v[112:113], v[36:37]
	v_fma_f64 v[112:113], v[34:35], s[34:35], v[173:174]
	s_delay_alu instid0(VALU_DEP_3) | instskip(SKIP_1) | instid1(VALU_DEP_3)
	v_add_f64_e32 v[114:115], v[169:170], v[114:115]
	v_fma_f64 v[169:170], v[24:25], s[18:19], v[175:176]
	v_add_f64_e32 v[62:63], v[112:113], v[62:63]
	v_fma_f64 v[112:113], v[24:25], s[18:19], -v[175:176]
	s_delay_alu instid0(VALU_DEP_3) | instskip(SKIP_1) | instid1(VALU_DEP_3)
	v_add_f64_e32 v[56:57], v[169:170], v[56:57]
	v_fma_f64 v[169:170], v[26:27], s[8:9], v[204:205]
	v_add_f64_e32 v[36:37], v[112:113], v[36:37]
	v_fma_f64 v[112:113], v[26:27], s[10:11], v[204:205]
	s_delay_alu instid0(VALU_DEP_3) | instskip(SKIP_1) | instid1(VALU_DEP_3)
	v_add_f64_e32 v[114:115], v[169:170], v[114:115]
	v_fma_f64 v[169:170], v[12:13], s[20:21], v[206:207]
	v_add_f64_e32 v[62:63], v[112:113], v[62:63]
	v_fma_f64 v[112:113], v[12:13], s[20:21], -v[206:207]
	s_delay_alu instid0(VALU_DEP_3) | instskip(SKIP_1) | instid1(VALU_DEP_3)
	;; [unrolled: 10-line block ×3, first 2 shown]
	v_add_f64_e32 v[169:170], v[169:170], v[56:57]
	v_mul_f64_e32 v[56:57], s[22:23], v[6:7]
	v_add_f64_e32 v[173:174], v[112:113], v[36:37]
	v_fma_f64 v[36:37], v[32:33], s[22:23], -v[102:103]
	v_mul_f64_e32 v[6:7], s[12:13], v[6:7]
	s_delay_alu instid0(VALU_DEP_4) | instskip(SKIP_1) | instid1(VALU_DEP_4)
	v_fma_f64 v[171:172], v[8:9], s[30:31], v[56:57]
	v_fma_f64 v[56:57], v[8:9], s[16:17], v[56:57]
	v_add_f64_e32 v[36:37], v[36:37], v[46:47]
	v_fma_f64 v[46:47], v[34:35], s[30:31], v[177:178]
	s_delay_alu instid0(VALU_DEP_4) | instskip(NEXT) | instid1(VALU_DEP_4)
	v_add_f64_e32 v[171:172], v[171:172], v[114:115]
	v_add_f64_e32 v[175:176], v[56:57], v[62:63]
	v_fma_f64 v[56:57], v[24:25], s[24:25], -v[179:180]
	s_delay_alu instid0(VALU_DEP_4) | instskip(NEXT) | instid1(VALU_DEP_2)
	v_add_f64_e32 v[46:47], v[46:47], v[60:61]
	v_add_f64_e32 v[36:37], v[56:57], v[36:37]
	v_fma_f64 v[56:57], v[26:27], s[26:27], v[196:197]
	s_delay_alu instid0(VALU_DEP_1) | instskip(SKIP_1) | instid1(VALU_DEP_1)
	v_add_f64_e32 v[46:47], v[56:57], v[46:47]
	v_fma_f64 v[56:57], v[12:13], s[12:13], -v[198:199]
	v_add_f64_e32 v[36:37], v[56:57], v[36:37]
	v_fma_f64 v[56:57], v[18:19], s[2:3], v[200:201]
	s_delay_alu instid0(VALU_DEP_1) | instskip(SKIP_1) | instid1(VALU_DEP_2)
	v_add_f64_e32 v[46:47], v[56:57], v[46:47]
	v_fma_f64 v[56:57], v[4:5], s[20:21], -v[202:203]
	v_add_f64_e32 v[179:180], v[54:55], v[46:47]
	s_delay_alu instid0(VALU_DEP_2) | instskip(SKIP_2) | instid1(VALU_DEP_2)
	v_add_f64_e32 v[177:178], v[56:57], v[36:37]
	v_fma_f64 v[36:37], v[32:33], s[12:13], -v[100:101]
	v_fma_f64 v[46:47], v[24:25], s[20:21], -v[183:184]
	v_add_f64_e32 v[36:37], v[36:37], v[44:45]
	v_fma_f64 v[44:45], v[34:35], s[28:29], v[181:182]
	s_delay_alu instid0(VALU_DEP_2) | instskip(NEXT) | instid1(VALU_DEP_2)
	v_add_f64_e32 v[36:37], v[46:47], v[36:37]
	v_add_f64_e32 v[44:45], v[44:45], v[58:59]
	v_fma_f64 v[46:47], v[26:27], s[36:37], v[187:188]
	s_delay_alu instid0(VALU_DEP_1) | instskip(SKIP_1) | instid1(VALU_DEP_1)
	v_add_f64_e32 v[44:45], v[46:47], v[44:45]
	v_fma_f64 v[46:47], v[12:13], s[24:25], -v[189:190]
	v_add_f64_e32 v[36:37], v[46:47], v[36:37]
	v_fma_f64 v[46:47], v[18:19], s[26:27], v[191:192]
	s_delay_alu instid0(VALU_DEP_1) | instskip(SKIP_1) | instid1(VALU_DEP_2)
	v_add_f64_e32 v[44:45], v[46:47], v[44:45]
	v_fma_f64 v[46:47], v[4:5], s[18:19], -v[194:195]
	v_add_f64_e32 v[183:184], v[52:53], v[44:45]
	s_delay_alu instid0(VALU_DEP_2) | instskip(SKIP_2) | instid1(VALU_DEP_2)
	v_add_f64_e32 v[181:182], v[46:47], v[36:37]
	v_fma_f64 v[36:37], v[32:33], s[18:19], -v[116:117]
	v_fma_f64 v[44:45], v[8:9], s[34:35], v[50:51]
	v_add_f64_e32 v[2:3], v[36:37], v[2:3]
	v_fma_f64 v[36:37], v[34:35], s[10:11], v[118:119]
	s_delay_alu instid0(VALU_DEP_1) | instskip(SKIP_1) | instid1(VALU_DEP_1)
	v_add_f64_e32 v[36:37], v[36:37], v[40:41]
	v_fma_f64 v[40:41], v[24:25], s[12:13], -v[120:121]
	v_add_f64_e32 v[2:3], v[40:41], v[2:3]
	v_fma_f64 v[40:41], v[26:27], s[28:29], v[122:123]
	s_delay_alu instid0(VALU_DEP_1) | instskip(SKIP_1) | instid1(VALU_DEP_1)
	v_add_f64_e32 v[36:37], v[40:41], v[36:37]
	v_fma_f64 v[40:41], v[12:13], s[22:23], -v[148:149]
	v_add_f64_e32 v[2:3], v[40:41], v[2:3]
	v_fma_f64 v[40:41], v[18:19], s[30:31], v[150:151]
	s_delay_alu instid0(VALU_DEP_1) | instskip(SKIP_1) | instid1(VALU_DEP_2)
	v_add_f64_e32 v[36:37], v[40:41], v[36:37]
	v_fma_f64 v[40:41], v[4:5], s[24:25], -v[185:186]
	v_add_f64_e32 v[187:188], v[44:45], v[36:37]
	s_delay_alu instid0(VALU_DEP_2) | instskip(SKIP_2) | instid1(VALU_DEP_2)
	v_add_f64_e32 v[185:186], v[40:41], v[2:3]
	v_mul_f64_e32 v[2:3], s[14:15], v[28:29]
	v_fma_f64 v[36:37], v[34:35], s[36:37], v[30:31]
	v_fma_f64 v[28:29], v[32:33], s[20:21], v[2:3]
	s_delay_alu instid0(VALU_DEP_2) | instskip(SKIP_4) | instid1(VALU_DEP_3)
	v_add_f64_e32 v[36:37], v[36:37], v[38:39]
	v_fma_f64 v[38:39], v[24:25], s[22:23], v[20:21]
	v_fma_f64 v[2:3], v[32:33], s[20:21], -v[2:3]
	v_fma_f64 v[20:21], v[24:25], s[22:23], -v[20:21]
	v_add_f64_e32 v[28:29], v[28:29], v[42:43]
	v_add_f64_e32 v[0:1], v[2:3], v[0:1]
	s_delay_alu instid0(VALU_DEP_2) | instskip(SKIP_2) | instid1(VALU_DEP_4)
	v_add_f64_e32 v[28:29], v[38:39], v[28:29]
	v_fma_f64 v[38:39], v[26:27], s[30:31], v[22:23]
	v_fma_f64 v[22:23], v[26:27], s[16:17], v[22:23]
	v_add_f64_e32 v[0:1], v[20:21], v[0:1]
	s_delay_alu instid0(VALU_DEP_3) | instskip(SKIP_2) | instid1(VALU_DEP_2)
	v_add_f64_e32 v[36:37], v[38:39], v[36:37]
	v_fma_f64 v[38:39], v[12:13], s[18:19], v[16:17]
	v_fma_f64 v[12:13], v[12:13], s[18:19], -v[16:17]
	v_add_f64_e32 v[28:29], v[38:39], v[28:29]
	v_fma_f64 v[38:39], v[18:19], s[8:9], v[14:15]
	v_fma_f64 v[14:15], v[18:19], s[10:11], v[14:15]
	s_delay_alu instid0(VALU_DEP_4) | instskip(NEXT) | instid1(VALU_DEP_3)
	v_add_f64_e32 v[0:1], v[12:13], v[0:1]
	v_add_f64_e32 v[36:37], v[38:39], v[36:37]
	v_fma_f64 v[38:39], v[4:5], s[12:13], v[10:11]
	v_fma_f64 v[4:5], v[4:5], s[12:13], -v[10:11]
	s_delay_alu instid0(VALU_DEP_2) | instskip(SKIP_2) | instid1(VALU_DEP_4)
	v_add_f64_e32 v[198:199], v[38:39], v[28:29]
	v_fma_f64 v[28:29], v[8:9], s[28:29], v[6:7]
	v_fma_f64 v[6:7], v[8:9], s[2:3], v[6:7]
	v_add_f64_e32 v[148:149], v[4:5], v[0:1]
	s_delay_alu instid0(VALU_DEP_3) | instskip(SKIP_1) | instid1(VALU_DEP_1)
	v_add_f64_e32 v[200:201], v[28:29], v[36:37]
	v_fma_f64 v[28:29], v[34:35], s[14:15], v[30:31]
	v_add_f64_e32 v[2:3], v[28:29], v[48:49]
	s_delay_alu instid0(VALU_DEP_1) | instskip(NEXT) | instid1(VALU_DEP_1)
	v_add_f64_e32 v[2:3], v[22:23], v[2:3]
	v_add_f64_e32 v[2:3], v[14:15], v[2:3]
	s_delay_alu instid0(VALU_DEP_1)
	v_add_f64_e32 v[150:151], v[6:7], v[2:3]
	ds_store_b128 v160, v[156:159] offset:32
	ds_store_b128 v160, v[161:164] offset:48
	;; [unrolled: 1-line block ×9, first 2 shown]
	ds_store_b128 v160, v[152:155]
	ds_store_b128 v160, v[148:151] offset:160
	global_wb scope:SCOPE_SE
	s_wait_dscnt 0x0
	s_barrier_signal -1
	s_barrier_wait -1
	global_inv scope:SCOPE_SE
	ds_load_b128 v[156:159], v193
	ds_load_b128 v[152:155], v193 offset:880
	ds_load_b128 v[176:179], v193 offset:1936
	;; [unrolled: 1-line block ×9, first 2 shown]
	s_and_saveexec_b32 s2, vcc_lo
	s_cbranch_execz .LBB0_7
; %bb.6:
	ds_load_b128 v[148:151], v193 offset:1760
	ds_load_b128 v[0:3], v193 offset:3696
	s_wait_dscnt 0x0
	scratch_store_b128 off, v[0:3], off     ; 16-byte Folded Spill
	ds_load_b128 v[0:3], v193 offset:5632
	s_wait_dscnt 0x0
	scratch_store_b128 off, v[0:3], off offset:32 ; 16-byte Folded Spill
	ds_load_b128 v[0:3], v193 offset:7568
	s_wait_dscnt 0x0
	scratch_store_b128 off, v[0:3], off offset:48 ; 16-byte Folded Spill
	;; [unrolled: 3-line block ×3, first 2 shown]
.LBB0_7:
	s_wait_alu 0xfffe
	s_or_b32 exec_lo, exec_lo, s2
	scratch_load_b128 v[32:35], off, off offset:252 th:TH_LOAD_LU ; 16-byte Folded Reload
	s_wait_dscnt 0x7
	v_mul_f64_e32 v[0:1], v[66:67], v[178:179]
	s_wait_dscnt 0x1
	v_mul_f64_e32 v[8:9], v[74:75], v[190:191]
	v_mul_f64_e32 v[6:7], v[66:67], v[176:177]
	;; [unrolled: 1-line block ×8, first 2 shown]
	s_wait_dscnt 0x0
	v_mul_f64_e32 v[30:31], v[90:91], v[172:173]
	v_mul_f64_e32 v[18:19], v[78:79], v[166:167]
	s_mov_b32 s2, 0x134454ff
	s_mov_b32 s3, 0xbfee6f0e
	;; [unrolled: 1-line block ×3, first 2 shown]
	s_wait_alu 0xfffe
	s_mov_b32 s8, s2
	v_mul_f64_e32 v[16:17], v[82:83], v[162:163]
	v_mul_f64_e32 v[24:25], v[90:91], v[174:175]
	s_mov_b32 s12, 0x4755a5e
	s_mov_b32 s13, 0xbfe2cf23
	s_mov_b32 s11, 0x3fe2cf23
	s_wait_alu 0xfffe
	s_mov_b32 s10, s12
	s_mov_b32 s14, 0x372fe950
	;; [unrolled: 1-line block ×3, first 2 shown]
	global_wb scope:SCOPE_SE
	s_wait_loadcnt 0x0
	s_wait_storecnt 0x0
	s_barrier_signal -1
	s_barrier_wait -1
	global_inv scope:SCOPE_SE
	v_mul_f64_e32 v[20:21], v[86:87], v[170:171]
	v_fma_f64 v[0:1], v[64:65], v[176:177], v[0:1]
	v_fma_f64 v[8:9], v[72:73], v[188:189], v[8:9]
	v_fma_f64 v[6:7], v[64:65], v[178:179], -v[6:7]
	v_fma_f64 v[12:13], v[68:69], v[186:187], -v[12:13]
	v_fma_f64 v[22:23], v[80:81], v[162:163], -v[22:23]
	v_fma_f64 v[4:5], v[68:69], v[184:185], v[4:5]
	v_fma_f64 v[14:15], v[72:73], v[190:191], -v[14:15]
	v_fma_f64 v[26:27], v[76:77], v[166:167], -v[26:27]
	;; [unrolled: 1-line block ×4, first 2 shown]
	v_fma_f64 v[18:19], v[76:77], v[164:165], v[18:19]
	v_fma_f64 v[16:17], v[80:81], v[160:161], v[16:17]
	;; [unrolled: 1-line block ×4, first 2 shown]
	v_add_f64_e32 v[48:49], v[156:157], v[0:1]
	v_add_f64_e64 v[60:61], v[0:1], -v[8:9]
	v_add_f64_e32 v[54:55], v[158:159], v[6:7]
	v_add_f64_e32 v[58:59], v[154:155], v[22:23]
	v_add_f64_e64 v[76:77], v[4:5], -v[8:9]
	v_add_f64_e32 v[38:39], v[6:7], v[14:15]
	v_add_f64_e64 v[50:51], v[6:7], -v[14:15]
	v_add_f64_e32 v[44:45], v[26:27], v[28:29]
	v_add_f64_e32 v[46:47], v[22:23], v[30:31]
	v_add_f64_e64 v[64:65], v[22:23], -v[30:31]
	v_add_f64_e64 v[66:67], v[26:27], -v[28:29]
	;; [unrolled: 1-line block ×9, first 2 shown]
	v_add_f64_e32 v[56:57], v[152:153], v[16:17]
	v_add_f64_e32 v[42:43], v[16:17], v[24:25]
	v_add_f64_e64 v[68:69], v[16:17], -v[24:25]
	v_add_f64_e64 v[84:85], v[16:17], -v[18:19]
	;; [unrolled: 1-line block ×3, first 2 shown]
	v_add_f64_e32 v[40:41], v[18:19], v[20:21]
	v_add_f64_e64 v[70:71], v[18:19], -v[20:21]
	v_add_f64_e64 v[86:87], v[24:25], -v[20:21]
	v_add_f64_e64 v[88:89], v[20:21], -v[24:25]
	v_add_f64_e32 v[26:27], v[58:59], v[26:27]
	v_fma_f64 v[38:39], v[38:39], -0.5, v[158:159]
	v_fma_f64 v[44:45], v[44:45], -0.5, v[154:155]
	;; [unrolled: 1-line block ×3, first 2 shown]
	v_add_f64_e32 v[90:91], v[90:91], v[100:101]
	v_add_f64_e32 v[22:23], v[22:23], v[102:103]
	v_add_f64_e32 v[18:19], v[56:57], v[18:19]
	v_fma_f64 v[42:43], v[42:43], -0.5, v[152:153]
	v_fma_f64 v[40:41], v[40:41], -0.5, v[152:153]
	v_add_f64_e32 v[86:87], v[84:85], v[86:87]
	v_add_f64_e32 v[16:17], v[16:17], v[88:89]
	v_fma_f64 v[116:117], v[68:69], s[8:9], v[44:45]
	v_fma_f64 v[118:119], v[70:71], s[2:3], v[46:47]
	;; [unrolled: 1-line block ×10, first 2 shown]
	s_wait_alu 0xfffe
	v_fma_f64 v[42:43], v[64:65], s[10:11], v[42:43]
	s_delay_alu instid0(VALU_DEP_4) | instskip(NEXT) | instid1(VALU_DEP_1)
	v_fma_f64 v[40:41], v[66:67], s[10:11], v[40:41]
	v_fma_f64 v[88:89], v[86:87], s[14:15], v[40:41]
	v_mul_f64_e32 v[10:11], v[34:35], v[180:181]
	v_mul_f64_e32 v[2:3], v[34:35], v[182:183]
	v_add_f64_e32 v[34:35], v[0:1], v[8:9]
	s_delay_alu instid0(VALU_DEP_3) | instskip(NEXT) | instid1(VALU_DEP_3)
	v_fma_f64 v[10:11], v[32:33], v[182:183], -v[10:11]
	v_fma_f64 v[2:3], v[32:33], v[180:181], v[2:3]
	s_delay_alu instid0(VALU_DEP_3) | instskip(NEXT) | instid1(VALU_DEP_3)
	v_fma_f64 v[34:35], v[34:35], -0.5, v[156:157]
	v_add_f64_e64 v[52:53], v[10:11], -v[12:13]
	s_delay_alu instid0(VALU_DEP_3)
	v_add_f64_e32 v[32:33], v[2:3], v[4:5]
	v_add_f64_e32 v[36:37], v[10:11], v[12:13]
	v_add_f64_e64 v[62:63], v[2:3], -v[4:5]
	v_add_f64_e64 v[72:73], v[0:1], -v[2:3]
	;; [unrolled: 1-line block ×5, first 2 shown]
	v_add_f64_e32 v[2:3], v[48:49], v[2:3]
	v_add_f64_e32 v[10:11], v[54:55], v[10:11]
	v_fma_f64 v[54:55], v[52:53], s[8:9], v[34:35]
	v_fma_f64 v[34:35], v[52:53], s[2:3], v[34:35]
	v_fma_f64 v[32:33], v[32:33], -0.5, v[156:157]
	v_fma_f64 v[36:37], v[36:37], -0.5, v[158:159]
	v_add_f64_e32 v[72:73], v[72:73], v[74:75]
	v_add_f64_e32 v[0:1], v[0:1], v[76:77]
	;; [unrolled: 1-line block ×3, first 2 shown]
	v_fma_f64 v[58:59], v[62:63], s[2:3], v[38:39]
	v_add_f64_e32 v[2:3], v[2:3], v[4:5]
	v_add_f64_e32 v[4:5], v[10:11], v[12:13]
	;; [unrolled: 1-line block ×3, first 2 shown]
	v_fma_f64 v[38:39], v[62:63], s[8:9], v[38:39]
	v_add_f64_e32 v[10:11], v[18:19], v[20:21]
	v_add_f64_e32 v[6:7], v[6:7], v[82:83]
	v_fma_f64 v[156:157], v[16:17], s[14:15], v[42:43]
	v_fma_f64 v[158:159], v[22:23], s[14:15], v[46:47]
	;; [unrolled: 1-line block ×11, first 2 shown]
	v_add_f64_e32 v[64:65], v[10:11], v[24:25]
	v_fma_f64 v[76:77], v[0:1], s[14:15], v[26:27]
	v_fma_f64 v[80:81], v[0:1], s[14:15], v[28:29]
	scratch_load_b32 v0, off, off offset:276 th:TH_LOAD_LU ; 4-byte Folded Reload
	v_fma_f64 v[18:19], v[52:53], s[12:13], v[48:49]
	v_fma_f64 v[20:21], v[52:53], s[10:11], v[32:33]
	;; [unrolled: 1-line block ×5, first 2 shown]
	v_add_f64_e32 v[60:61], v[2:3], v[8:9]
	v_add_f64_e32 v[62:63], v[4:5], v[14:15]
	v_fma_f64 v[52:53], v[70:71], s[10:11], v[116:117]
	v_fma_f64 v[82:83], v[6:7], s[14:15], v[38:39]
	;; [unrolled: 1-line block ×3, first 2 shown]
	v_add_f64_e32 v[66:67], v[12:13], v[30:31]
	v_fma_f64 v[152:153], v[16:17], s[14:15], v[50:51]
	v_fma_f64 v[154:155], v[22:23], s[14:15], v[54:55]
	;; [unrolled: 1-line block ×7, first 2 shown]
	s_wait_loadcnt 0x0
	ds_store_b128 v0, v[60:63]
	ds_store_b128 v0, v[68:71] offset:176
	ds_store_b128 v0, v[76:79] offset:352
	;; [unrolled: 1-line block ×4, first 2 shown]
	scratch_load_b32 v0, off, off offset:272 th:TH_LOAD_LU ; 4-byte Folded Reload
	v_fma_f64 v[84:85], v[86:87], s[14:15], v[48:49]
	v_fma_f64 v[86:87], v[90:91], s[14:15], v[52:53]
	;; [unrolled: 1-line block ×3, first 2 shown]
	s_wait_loadcnt 0x0
	ds_store_b128 v0, v[64:67]
	ds_store_b128 v0, v[84:87] offset:176
	ds_store_b128 v0, v[152:155] offset:352
	;; [unrolled: 1-line block ×4, first 2 shown]
	s_and_saveexec_b32 s16, vcc_lo
	s_cbranch_execz .LBB0_9
; %bb.8:
	s_clause 0x7
	scratch_load_b128 v[16:19], off, off offset:288 th:TH_LOAD_LU
	scratch_load_b128 v[40:43], off, off offset:32 th:TH_LOAD_LU
	;; [unrolled: 1-line block ×3, first 2 shown]
	scratch_load_b128 v[32:35], off, off th:TH_LOAD_LU
	scratch_load_b128 v[28:31], off, off offset:336 th:TH_LOAD_LU
	scratch_load_b128 v[36:39], off, off offset:16 th:TH_LOAD_LU
	scratch_load_b128 v[24:27], off, off offset:320 th:TH_LOAD_LU
	scratch_load_b128 v[44:47], off, off offset:48 th:TH_LOAD_LU
	s_wait_loadcnt 0x6
	v_mul_f64_e32 v[0:1], v[18:19], v[40:41]
	s_wait_loadcnt 0x4
	v_mul_f64_e32 v[2:3], v[22:23], v[32:33]
	;; [unrolled: 2-line block ×4, first 2 shown]
	v_mul_f64_e32 v[14:15], v[30:31], v[38:39]
	v_mul_f64_e32 v[8:9], v[18:19], v[42:43]
	;; [unrolled: 1-line block ×4, first 2 shown]
	v_fma_f64 v[0:1], v[16:17], v[42:43], -v[0:1]
	v_fma_f64 v[2:3], v[20:21], v[34:35], -v[2:3]
	;; [unrolled: 1-line block ×4, first 2 shown]
	v_fma_f64 v[14:15], v[28:29], v[36:37], v[14:15]
	v_fma_f64 v[8:9], v[16:17], v[40:41], v[8:9]
	;; [unrolled: 1-line block ×4, first 2 shown]
	v_add_f64_e32 v[28:29], v[150:151], v[2:3]
	v_add_f64_e32 v[16:17], v[2:3], v[4:5]
	;; [unrolled: 1-line block ×3, first 2 shown]
	v_add_f64_e64 v[32:33], v[2:3], -v[4:5]
	v_add_f64_e64 v[34:35], v[0:1], -v[6:7]
	;; [unrolled: 1-line block ×4, first 2 shown]
	v_add_f64_e32 v[22:23], v[12:13], v[14:15]
	v_add_f64_e64 v[26:27], v[12:13], -v[14:15]
	v_add_f64_e32 v[30:31], v[148:149], v[12:13]
	v_add_f64_e64 v[42:43], v[8:9], -v[12:13]
	v_add_f64_e64 v[12:13], v[12:13], -v[8:9]
	;; [unrolled: 1-line block ×3, first 2 shown]
	v_add_f64_e32 v[20:21], v[8:9], v[10:11]
	v_add_f64_e64 v[24:25], v[8:9], -v[10:11]
	v_add_f64_e64 v[40:41], v[4:5], -v[6:7]
	;; [unrolled: 1-line block ×4, first 2 shown]
	v_add_f64_e32 v[0:1], v[28:29], v[0:1]
	v_fma_f64 v[16:17], v[16:17], -0.5, v[150:151]
	v_fma_f64 v[18:19], v[18:19], -0.5, v[150:151]
	;; [unrolled: 1-line block ×3, first 2 shown]
	v_add_f64_e32 v[8:9], v[30:31], v[8:9]
	v_add_f64_e32 v[12:13], v[12:13], v[46:47]
	v_fma_f64 v[20:21], v[20:21], -0.5, v[148:149]
	v_add_f64_e32 v[2:3], v[2:3], v[40:41]
	v_add_f64_e32 v[36:37], v[36:37], v[38:39]
	;; [unrolled: 1-line block ×4, first 2 shown]
	v_fma_f64 v[28:29], v[24:25], s[8:9], v[16:17]
	v_fma_f64 v[16:17], v[24:25], s[2:3], v[16:17]
	;; [unrolled: 1-line block ×6, first 2 shown]
	v_add_f64_e32 v[6:7], v[8:9], v[10:11]
	v_fma_f64 v[48:49], v[32:33], s[2:3], v[20:21]
	v_fma_f64 v[20:21], v[32:33], s[8:9], v[20:21]
	v_add_f64_e32 v[46:47], v[0:1], v[4:5]
	scratch_load_b32 v0, off, off offset:268 th:TH_LOAD_LU ; 4-byte Folded Reload
	v_fma_f64 v[10:11], v[26:27], s[10:11], v[16:17]
	v_fma_f64 v[16:17], v[24:25], s[12:13], v[30:31]
	;; [unrolled: 1-line block ×6, first 2 shown]
	v_add_f64_e32 v[44:45], v[6:7], v[14:15]
	v_fma_f64 v[24:25], v[34:35], s[12:13], v[48:49]
	v_fma_f64 v[20:21], v[34:35], s[10:11], v[20:21]
	;; [unrolled: 1-line block ×10, first 2 shown]
	s_wait_loadcnt 0x0
	v_lshlrev_b32_e32 v0, 4, v0
	ds_store_b128 v0, v[44:47] offset:8800
	ds_store_b128 v0, v[60:63] offset:8976
	ds_store_b128 v0, v[52:55] offset:9152
	ds_store_b128 v0, v[48:51] offset:9328
	ds_store_b128 v0, v[56:59] offset:9504
.LBB0_9:
	s_wait_alu 0xfffe
	s_or_b32 exec_lo, exec_lo, s16
	global_wb scope:SCOPE_SE
	s_wait_dscnt 0x0
	s_barrier_signal -1
	s_barrier_wait -1
	global_inv scope:SCOPE_SE
	ds_load_b128 v[44:47], v193 offset:880
	ds_load_b128 v[52:55], v193 offset:8800
	;; [unrolled: 1-line block ×10, first 2 shown]
	s_mov_b32 s2, 0xf8bb580b
	s_mov_b32 s8, 0x8764f0ba
	;; [unrolled: 1-line block ×14, first 2 shown]
	s_wait_dscnt 0x8
	v_mul_f64_e32 v[4:5], v[94:95], v[52:53]
	s_wait_dscnt 0x7
	v_mul_f64_e32 v[6:7], v[106:107], v[56:57]
	v_mul_f64_e32 v[0:1], v[98:99], v[46:47]
	;; [unrolled: 1-line block ×3, first 2 shown]
	s_wait_dscnt 0x6
	v_mul_f64_e32 v[8:9], v[110:111], v[60:61]
	v_mul_f64_e32 v[10:11], v[106:107], v[58:59]
	s_wait_dscnt 0x5
	v_mul_f64_e32 v[12:13], v[130:131], v[64:65]
	s_wait_dscnt 0x4
	v_mul_f64_e32 v[14:15], v[138:139], v[68:69]
	v_mul_f64_e32 v[18:19], v[130:131], v[66:67]
	;; [unrolled: 1-line block ×3, first 2 shown]
	s_wait_dscnt 0x3
	v_mul_f64_e32 v[26:27], v[126:127], v[72:73]
	s_wait_dscnt 0x1
	v_mul_f64_e32 v[28:29], v[134:135], v[82:83]
	v_mul_f64_e32 v[34:35], v[146:147], v[76:77]
	;; [unrolled: 1-line block ×7, first 2 shown]
	s_mov_b32 s25, 0xbfe82f19
	s_mov_b32 s27, 0xbfe4f49e
	;; [unrolled: 1-line block ×8, first 2 shown]
	s_wait_alu 0xfffe
	s_mov_b32 s10, s2
	s_mov_b32 s16, s12
	;; [unrolled: 1-line block ×8, first 2 shown]
	v_fma_f64 v[48:49], v[92:93], v[54:55], -v[4:5]
	v_fma_f64 v[4:5], v[104:105], v[58:59], -v[6:7]
	v_fma_f64 v[0:1], v[96:97], v[44:45], v[0:1]
	v_fma_f64 v[2:3], v[96:97], v[46:47], -v[2:3]
	ds_load_b128 v[44:47], v193
	s_wait_dscnt 0x1
	v_mul_f64_e32 v[36:37], v[142:143], v[86:87]
	v_fma_f64 v[50:51], v[108:109], v[62:63], -v[8:9]
	v_fma_f64 v[6:7], v[104:105], v[56:57], v[10:11]
	v_mul_f64_e32 v[38:39], v[142:143], v[84:85]
	v_fma_f64 v[12:13], v[128:129], v[66:67], -v[12:13]
	v_fma_f64 v[56:57], v[136:137], v[70:71], -v[14:15]
	v_fma_f64 v[14:15], v[128:129], v[64:65], v[18:19]
	v_fma_f64 v[54:55], v[108:109], v[60:61], v[20:21]
	v_fma_f64 v[18:19], v[124:125], v[74:75], -v[26:27]
	v_fma_f64 v[20:21], v[132:133], v[80:81], v[28:29]
	v_fma_f64 v[26:27], v[144:145], v[78:79], -v[34:35]
	v_fma_f64 v[52:53], v[92:93], v[52:53], v[16:17]
	v_fma_f64 v[16:17], v[124:125], v[72:73], v[22:23]
	;; [unrolled: 1-line block ×3, first 2 shown]
	v_fma_f64 v[22:23], v[132:133], v[82:83], -v[30:31]
	v_fma_f64 v[24:25], v[144:145], v[76:77], v[32:33]
	s_wait_dscnt 0x0
	v_add_f64_e32 v[8:9], v[44:45], v[0:1]
	v_add_f64_e32 v[10:11], v[46:47], v[2:3]
	v_add_f64_e64 v[32:33], v[2:3], -v[48:49]
	v_fma_f64 v[28:29], v[140:141], v[84:85], v[36:37]
	v_add_f64_e64 v[34:35], v[4:5], -v[50:51]
	v_add_f64_e32 v[36:37], v[4:5], v[50:51]
	v_fma_f64 v[30:31], v[140:141], v[86:87], -v[38:39]
	v_add_f64_e32 v[2:3], v[2:3], v[48:49]
	v_add_f64_e32 v[38:39], v[12:13], v[56:57]
	;; [unrolled: 1-line block ×4, first 2 shown]
	v_add_f64_e64 v[0:1], v[0:1], -v[52:53]
	v_add_f64_e32 v[64:65], v[16:17], v[20:21]
	v_add_f64_e32 v[66:67], v[18:19], v[22:23]
	v_add_f64_e64 v[68:69], v[18:19], -v[22:23]
	v_add_f64_e64 v[70:71], v[16:17], -v[20:21]
	v_add_f64_e32 v[60:61], v[14:15], v[58:59]
	v_add_f64_e64 v[62:63], v[14:15], -v[58:59]
	v_add_f64_e32 v[8:9], v[8:9], v[6:7]
	v_add_f64_e32 v[4:5], v[10:11], v[4:5]
	v_mul_f64_e32 v[80:81], s[2:3], v[32:33]
	v_mul_f64_e32 v[84:85], s[12:13], v[32:33]
	;; [unrolled: 1-line block ×4, first 2 shown]
	v_add_f64_e32 v[74:75], v[26:27], v[30:31]
	v_mul_f64_e32 v[82:83], s[8:9], v[2:3]
	v_mul_f64_e32 v[86:87], s[14:15], v[2:3]
	v_mul_f64_e32 v[90:91], s[20:21], v[2:3]
	v_mul_f64_e32 v[94:95], s[26:27], v[2:3]
	v_mul_f64_e32 v[32:33], s[30:31], v[32:33]
	v_mul_f64_e32 v[2:3], s[34:35], v[2:3]
	v_add_f64_e64 v[10:11], v[12:13], -v[56:57]
	v_add_f64_e64 v[6:7], v[6:7], -v[54:55]
	v_mul_f64_e32 v[96:97], s[12:13], v[34:35]
	v_mul_f64_e32 v[98:99], s[14:15], v[36:37]
	;; [unrolled: 1-line block ×4, first 2 shown]
	s_wait_alu 0xfffe
	v_mul_f64_e32 v[104:105], s[22:23], v[34:35]
	v_mul_f64_e32 v[106:107], s[20:21], v[36:37]
	;; [unrolled: 1-line block ×6, first 2 shown]
	v_add_f64_e32 v[72:73], v[24:25], v[28:29]
	v_add_f64_e64 v[76:77], v[24:25], -v[28:29]
	v_add_f64_e64 v[78:79], v[26:27], -v[30:31]
	v_mul_f64_e32 v[38:39], s[26:27], v[38:39]
	v_mul_f64_e32 v[124:125], s[24:25], v[68:69]
	;; [unrolled: 1-line block ×10, first 2 shown]
	v_add_f64_e32 v[8:9], v[8:9], v[14:15]
	v_add_f64_e32 v[4:5], v[4:5], v[12:13]
	v_mul_f64_e32 v[12:13], s[26:27], v[36:37]
	v_fma_f64 v[156:157], v[40:41], s[14:15], v[84:85]
	v_mul_f64_e32 v[14:15], s[36:37], v[34:35]
	v_fma_f64 v[84:85], v[40:41], s[14:15], -v[84:85]
	v_mul_f64_e32 v[142:143], s[34:35], v[74:75]
	v_mul_f64_e32 v[146:147], s[8:9], v[74:75]
	;; [unrolled: 1-line block ×4, first 2 shown]
	v_fma_f64 v[158:159], v[0:1], s[16:17], v[86:87]
	v_fma_f64 v[160:161], v[40:41], s[20:21], v[88:89]
	;; [unrolled: 1-line block ×3, first 2 shown]
	v_fma_f64 v[88:89], v[40:41], s[20:21], -v[88:89]
	v_fma_f64 v[164:165], v[40:41], s[26:27], v[92:93]
	v_fma_f64 v[166:167], v[0:1], s[28:29], v[94:95]
	v_mul_f64_e32 v[34:35], s[10:11], v[34:35]
	v_mul_f64_e32 v[36:37], s[8:9], v[36:37]
	v_fma_f64 v[92:93], v[40:41], s[26:27], -v[92:93]
	v_fma_f64 v[168:169], v[40:41], s[34:35], v[32:33]
	v_fma_f64 v[170:171], v[0:1], s[36:37], v[2:3]
	;; [unrolled: 1-line block ×5, first 2 shown]
	v_fma_f64 v[32:33], v[40:41], s[34:35], -v[32:33]
	v_mul_f64_e32 v[108:109], s[18:19], v[10:11]
	v_mul_f64_e32 v[112:113], s[36:37], v[10:11]
	v_fma_f64 v[172:173], v[42:43], s[26:27], v[100:101]
	v_mul_f64_e32 v[116:117], s[16:17], v[10:11]
	v_fma_f64 v[100:101], v[42:43], s[26:27], -v[100:101]
	v_fma_f64 v[178:179], v[6:7], s[30:31], v[102:103]
	v_mul_f64_e32 v[120:121], s[2:3], v[10:11]
	v_fma_f64 v[180:181], v[42:43], s[20:21], v[104:105]
	v_fma_f64 v[182:183], v[6:7], s[18:19], v[106:107]
	v_mul_f64_e32 v[10:11], s[24:25], v[10:11]
	v_fma_f64 v[104:105], v[42:43], s[20:21], -v[104:105]
	v_fma_f64 v[102:103], v[6:7], s[36:37], v[102:103]
	v_fma_f64 v[186:187], v[62:63], s[30:31], v[114:115]
	v_add_f64_e32 v[8:9], v[8:9], v[16:17]
	v_add_f64_e32 v[4:5], v[4:5], v[18:19]
	v_mul_f64_e32 v[16:17], s[20:21], v[74:75]
	v_fma_f64 v[18:19], v[40:41], s[8:9], v[80:81]
	v_fma_f64 v[74:75], v[0:1], s[10:11], v[82:83]
	v_fma_f64 v[80:81], v[40:41], s[8:9], -v[80:81]
	v_fma_f64 v[82:83], v[0:1], s[2:3], v[82:83]
	v_fma_f64 v[0:1], v[0:1], s[30:31], v[2:3]
	;; [unrolled: 1-line block ×4, first 2 shown]
	v_fma_f64 v[96:97], v[42:43], s[14:15], -v[96:97]
	v_fma_f64 v[98:99], v[6:7], s[12:13], v[98:99]
	v_fma_f64 v[174:175], v[6:7], s[28:29], v[12:13]
	v_add_f64_e32 v[156:157], v[44:45], v[156:157]
	v_add_f64_e32 v[158:159], v[46:47], v[158:159]
	v_fma_f64 v[176:177], v[42:43], s[34:35], v[14:15]
	v_add_f64_e32 v[84:85], v[44:45], v[84:85]
	v_add_f64_e32 v[160:161], v[44:45], v[160:161]
	;; [unrolled: 1-line block ×3, first 2 shown]
	v_fma_f64 v[14:15], v[42:43], s[34:35], -v[14:15]
	v_add_f64_e32 v[88:89], v[44:45], v[88:89]
	v_add_f64_e32 v[164:165], v[44:45], v[164:165]
	;; [unrolled: 1-line block ×6, first 2 shown]
	v_fma_f64 v[12:13], v[6:7], s[24:25], v[12:13]
	v_add_f64_e32 v[32:33], v[44:45], v[32:33]
	v_add_f64_e32 v[90:91], v[46:47], v[90:91]
	;; [unrolled: 1-line block ×3, first 2 shown]
	v_fma_f64 v[184:185], v[60:61], s[34:35], v[112:113]
	v_fma_f64 v[188:189], v[60:61], s[14:15], v[116:117]
	;; [unrolled: 1-line block ×3, first 2 shown]
	v_fma_f64 v[112:113], v[60:61], s[34:35], -v[112:113]
	v_fma_f64 v[116:117], v[60:61], s[14:15], -v[116:117]
	v_mul_f64_e32 v[66:67], s[14:15], v[66:67]
	v_fma_f64 v[118:119], v[62:63], s[16:17], v[118:119]
	v_fma_f64 v[114:115], v[62:63], s[36:37], v[114:115]
	v_add_f64_e32 v[8:9], v[8:9], v[24:25]
	v_add_f64_e32 v[4:5], v[4:5], v[26:27]
	v_fma_f64 v[24:25], v[6:7], s[22:23], v[106:107]
	v_add_f64_e32 v[18:19], v[44:45], v[18:19]
	v_fma_f64 v[26:27], v[42:43], s[8:9], v[34:35]
	v_add_f64_e32 v[80:81], v[44:45], v[80:81]
	v_add_f64_e32 v[82:83], v[46:47], v[82:83]
	v_fma_f64 v[106:107], v[6:7], s[2:3], v[36:37]
	v_fma_f64 v[34:35], v[42:43], s[8:9], -v[34:35]
	v_fma_f64 v[6:7], v[6:7], s[10:11], v[36:37]
	v_add_f64_e32 v[0:1], v[46:47], v[0:1]
	v_add_f64_e32 v[44:45], v[46:47], v[94:95]
	v_fma_f64 v[36:37], v[60:61], s[20:21], v[108:109]
	v_fma_f64 v[42:43], v[62:63], s[22:23], v[110:111]
	;; [unrolled: 1-line block ×4, first 2 shown]
	v_add_f64_e32 v[84:85], v[100:101], v[84:85]
	v_fma_f64 v[108:109], v[60:61], s[20:21], -v[108:109]
	v_add_f64_e32 v[100:101], v[178:179], v[162:163]
	v_mul_f64_e32 v[144:145], s[10:11], v[78:79]
	v_add_f64_e32 v[14:15], v[14:15], v[88:89]
	v_add_f64_e32 v[88:89], v[180:181], v[164:165]
	v_fma_f64 v[194:195], v[64:65], s[20:21], v[128:129]
	v_add_f64_e32 v[92:93], v[104:105], v[92:93]
	v_fma_f64 v[196:197], v[70:71], s[18:19], v[130:131]
	v_mul_f64_e32 v[140:141], s[30:31], v[78:79]
	v_mul_f64_e32 v[148:149], s[24:25], v[78:79]
	;; [unrolled: 1-line block ×3, first 2 shown]
	v_fma_f64 v[128:129], v[64:65], s[20:21], -v[128:129]
	v_add_f64_e32 v[12:13], v[12:13], v[86:87]
	v_fma_f64 v[86:87], v[70:71], s[36:37], v[138:139]
	v_mul_f64_e32 v[78:79], s[18:19], v[78:79]
	v_fma_f64 v[130:131], v[70:71], s[22:23], v[130:131]
	v_add_f64_e32 v[8:9], v[8:9], v[28:29]
	v_add_f64_e32 v[4:5], v[4:5], v[30:31]
	;; [unrolled: 1-line block ×4, first 2 shown]
	v_fma_f64 v[30:31], v[60:61], s[8:9], v[120:121]
	v_add_f64_e32 v[18:19], v[96:97], v[80:81]
	v_add_f64_e32 v[80:81], v[98:99], v[82:83]
	v_add_f64_e32 v[82:83], v[172:173], v[156:157]
	v_add_f64_e32 v[96:97], v[174:175], v[158:159]
	v_add_f64_e32 v[98:99], v[176:177], v[160:161]
	v_fma_f64 v[46:47], v[62:63], s[10:11], v[122:123]
	v_add_f64_e32 v[156:157], v[182:183], v[166:167]
	v_fma_f64 v[74:75], v[60:61], s[8:9], -v[120:121]
	v_fma_f64 v[120:121], v[60:61], s[26:27], v[10:11]
	v_fma_f64 v[122:123], v[62:63], s[28:29], v[38:39]
	v_add_f64_e32 v[26:27], v[26:27], v[168:169]
	v_add_f64_e32 v[104:105], v[106:107], v[170:171]
	v_fma_f64 v[10:11], v[60:61], s[26:27], -v[10:11]
	v_fma_f64 v[38:39], v[62:63], s[24:25], v[38:39]
	v_add_f64_e32 v[32:33], v[34:35], v[32:33]
	v_add_f64_e32 v[0:1], v[6:7], v[0:1]
	;; [unrolled: 1-line block ×4, first 2 shown]
	v_fma_f64 v[60:61], v[64:65], s[26:27], v[124:125]
	v_fma_f64 v[34:35], v[64:65], s[8:9], -v[132:133]
	v_fma_f64 v[44:45], v[64:65], s[34:35], v[136:137]
	v_add_f64_e32 v[84:85], v[112:113], v[84:85]
	v_add_f64_e32 v[14:15], v[116:117], v[14:15]
	v_fma_f64 v[106:107], v[64:65], s[14:15], v[68:69]
	v_fma_f64 v[124:125], v[64:65], s[26:27], -v[124:125]
	v_fma_f64 v[90:91], v[64:65], s[34:35], -v[136:137]
	v_fma_f64 v[102:103], v[70:71], s[30:31], v[138:139]
	v_add_f64_e32 v[12:13], v[114:115], v[12:13]
	v_fma_f64 v[62:63], v[70:71], s[28:29], v[126:127]
	v_fma_f64 v[126:127], v[70:71], s[24:25], v[126:127]
	;; [unrolled: 1-line block ×5, first 2 shown]
	v_add_f64_e32 v[8:9], v[8:9], v[20:21]
	v_add_f64_e32 v[4:5], v[4:5], v[22:23]
	;; [unrolled: 1-line block ×4, first 2 shown]
	v_fma_f64 v[22:23], v[64:65], s[8:9], v[132:133]
	v_fma_f64 v[28:29], v[70:71], s[10:11], v[134:135]
	v_add_f64_e32 v[36:37], v[110:111], v[80:81]
	v_add_f64_e32 v[80:81], v[184:185], v[82:83]
	;; [unrolled: 1-line block ×7, first 2 shown]
	v_fma_f64 v[132:133], v[70:71], s[12:13], v[66:67]
	v_fma_f64 v[64:65], v[64:65], s[14:15], -v[68:69]
	v_add_f64_e32 v[26:27], v[120:121], v[26:27]
	v_add_f64_e32 v[88:89], v[122:123], v[104:105]
	v_fma_f64 v[66:67], v[70:71], s[16:17], v[66:67]
	v_add_f64_e32 v[74:75], v[74:75], v[92:93]
	v_add_f64_e32 v[10:11], v[10:11], v[32:33]
	;; [unrolled: 1-line block ×4, first 2 shown]
	v_fma_f64 v[40:41], v[70:71], s[2:3], v[134:135]
	v_add_f64_e32 v[18:19], v[108:109], v[18:19]
	v_add_f64_e32 v[24:25], v[118:119], v[24:25]
	v_fma_f64 v[32:33], v[72:73], s[8:9], v[144:145]
	v_fma_f64 v[38:39], v[76:77], s[2:3], v[146:147]
	;; [unrolled: 1-line block ×11, first 2 shown]
	v_add_f64_e32 v[76:77], v[128:129], v[84:85]
	v_add_f64_e32 v[14:15], v[34:35], v[14:15]
	;; [unrolled: 1-line block ×6, first 2 shown]
	v_fma_f64 v[42:43], v[72:73], s[8:9], -v[144:145]
	v_fma_f64 v[118:119], v[72:73], s[20:21], v[78:79]
	v_fma_f64 v[70:71], v[72:73], s[34:35], -v[140:141]
	v_add_f64_e32 v[58:59], v[194:195], v[80:81]
	v_add_f64_e32 v[60:61], v[196:197], v[82:83]
	;; [unrolled: 1-line block ×6, first 2 shown]
	v_fma_f64 v[104:105], v[72:73], s[26:27], -v[148:149]
	v_fma_f64 v[114:115], v[72:73], s[14:15], -v[152:153]
	v_add_f64_e32 v[26:27], v[106:107], v[26:27]
	v_add_f64_e32 v[80:81], v[132:133], v[88:89]
	v_fma_f64 v[72:73], v[72:73], s[20:21], -v[78:79]
	v_add_f64_e32 v[46:47], v[90:91], v[74:75]
	v_add_f64_e32 v[10:11], v[64:65], v[10:11]
	;; [unrolled: 1-line block ×8, first 2 shown]
	s_mov_b32 s2, 0xdfd760e6
	s_mov_b32 s3, 0x3f5b14bb
	v_add_f64_e32 v[8:9], v[8:9], v[54:55]
	v_add_f64_e32 v[4:5], v[4:5], v[50:51]
	;; [unrolled: 1-line block ×22, first 2 shown]
	s_clause 0x1
	scratch_load_b64 v[0:1], off, off offset:180 th:TH_LOAD_LU
	scratch_load_b32 v6, off, off offset:160 th:TH_LOAD_LU
	v_add_f64_e32 v[50:51], v[8:9], v[52:53]
	v_add_f64_e32 v[52:53], v[4:5], v[48:49]
	;; [unrolled: 1-line block ×3, first 2 shown]
	ds_store_b128 v193, v[58:61] offset:1760
	ds_store_b128 v193, v[66:69] offset:2640
	;; [unrolled: 1-line block ×9, first 2 shown]
	ds_store_b128 v193, v[50:53]
	ds_store_b128 v193, v[44:47] offset:880
	global_wb scope:SCOPE_SE
	s_wait_loadcnt_dscnt 0x0
	s_barrier_signal -1
	s_barrier_wait -1
	global_inv scope:SCOPE_SE
	ds_load_b128 v[44:47], v193
	ds_load_b128 v[48:51], v193 offset:880
	ds_load_b128 v[52:55], v193 offset:1760
	;; [unrolled: 1-line block ×10, first 2 shown]
	s_clause 0x1
	scratch_load_b128 v[96:99], off, off offset:64 th:TH_LOAD_LU
	scratch_load_b128 v[116:119], off, off offset:220 th:TH_LOAD_LU
	v_mov_b32_e32 v4, v0
	v_mad_co_u64_u32 v[2:3], null, s4, v6, 0
	s_delay_alu instid0(VALU_DEP_2) | instskip(NEXT) | instid1(VALU_DEP_1)
	v_mad_co_u64_u32 v[0:1], null, s6, v4, 0
	v_mad_co_u64_u32 v[4:5], null, s7, v4, v[1:2]
	s_delay_alu instid0(VALU_DEP_1) | instskip(SKIP_1) | instid1(VALU_DEP_1)
	v_mad_co_u64_u32 v[5:6], null, s5, v6, v[3:4]
	v_mov_b32_e32 v1, v4
	v_lshlrev_b64_e32 v[0:1], 4, v[0:1]
	s_delay_alu instid0(VALU_DEP_3) | instskip(NEXT) | instid1(VALU_DEP_1)
	v_mov_b32_e32 v3, v5
	v_lshlrev_b64_e32 v[2:3], 4, v[2:3]
	s_delay_alu instid0(VALU_DEP_3) | instskip(SKIP_1) | instid1(VALU_DEP_4)
	v_add_co_u32 v0, vcc_lo, s0, v0
	s_wait_alu 0xfffd
	v_add_co_ci_u32_e32 v1, vcc_lo, s1, v1, vcc_lo
	s_mul_u64 s[0:1], s[4:5], 0x370
	s_delay_alu instid0(VALU_DEP_2) | instskip(SKIP_1) | instid1(VALU_DEP_2)
	v_add_co_u32 v92, vcc_lo, v0, v2
	s_wait_alu 0xfffd
	v_add_co_ci_u32_e32 v93, vcc_lo, v1, v3, vcc_lo
	s_wait_alu 0xfffe
	s_delay_alu instid0(VALU_DEP_2) | instskip(SKIP_1) | instid1(VALU_DEP_2)
	v_add_co_u32 v94, vcc_lo, v92, s0
	s_wait_alu 0xfffd
	v_add_co_ci_u32_e32 v95, vcc_lo, s1, v93, vcc_lo
	s_wait_loadcnt_dscnt 0x10a
	v_mul_f64_e32 v[4:5], v[98:99], v[46:47]
	v_mul_f64_e32 v[6:7], v[98:99], v[44:45]
	scratch_load_b128 v[98:101], off, off offset:80 th:TH_LOAD_LU ; 16-byte Folded Reload
	s_wait_loadcnt_dscnt 0x102
	v_mul_f64_e32 v[36:37], v[118:119], v[78:79]
	v_mul_f64_e32 v[38:39], v[118:119], v[76:77]
	scratch_load_b128 v[118:121], off, off offset:236 th:TH_LOAD_LU ; 16-byte Folded Reload
	v_fma_f64 v[0:1], v[96:97], v[44:45], v[4:5]
	v_fma_f64 v[2:3], v[96:97], v[46:47], -v[6:7]
	v_add_co_u32 v44, vcc_lo, v94, s0
	s_wait_alu 0xfffd
	v_add_co_ci_u32_e32 v45, vcc_lo, s1, v95, vcc_lo
	s_delay_alu instid0(VALU_DEP_2) | instskip(SKIP_1) | instid1(VALU_DEP_2)
	v_add_co_u32 v46, vcc_lo, v44, s0
	s_wait_alu 0xfffd
	v_add_co_ci_u32_e32 v47, vcc_lo, s1, v45, vcc_lo
	v_mul_f64_e32 v[0:1], s[2:3], v[0:1]
	v_mul_f64_e32 v[2:3], s[2:3], v[2:3]
	s_wait_loadcnt 0x1
	v_mul_f64_e32 v[8:9], v[100:101], v[50:51]
	v_mul_f64_e32 v[10:11], v[100:101], v[48:49]
	scratch_load_b128 v[100:103], off, off offset:96 th:TH_LOAD_LU ; 16-byte Folded Reload
	s_wait_loadcnt_dscnt 0x100
	v_mul_f64_e32 v[88:89], v[120:121], v[86:87]
	v_mul_f64_e32 v[90:91], v[120:121], v[84:85]
	v_fma_f64 v[4:5], v[98:99], v[48:49], v[8:9]
	v_fma_f64 v[6:7], v[98:99], v[50:51], -v[10:11]
	v_add_co_u32 v48, vcc_lo, v46, s0
	s_wait_alu 0xfffd
	v_add_co_ci_u32_e32 v49, vcc_lo, s1, v47, vcc_lo
	s_delay_alu instid0(VALU_DEP_2) | instskip(SKIP_1) | instid1(VALU_DEP_2)
	v_add_co_u32 v50, vcc_lo, v48, s0
	s_wait_alu 0xfffd
	v_add_co_ci_u32_e32 v51, vcc_lo, s1, v49, vcc_lo
	v_mul_f64_e32 v[4:5], s[2:3], v[4:5]
	v_mul_f64_e32 v[6:7], s[2:3], v[6:7]
	s_wait_loadcnt 0x0
	v_mul_f64_e32 v[12:13], v[102:103], v[54:55]
	v_mul_f64_e32 v[14:15], v[102:103], v[52:53]
	scratch_load_b128 v[102:105], off, off offset:112 th:TH_LOAD_LU ; 16-byte Folded Reload
	v_fma_f64 v[8:9], v[100:101], v[52:53], v[12:13]
	v_fma_f64 v[10:11], v[100:101], v[54:55], -v[14:15]
	v_add_co_u32 v52, vcc_lo, v50, s0
	s_wait_alu 0xfffd
	v_add_co_ci_u32_e32 v53, vcc_lo, s1, v51, vcc_lo
	s_delay_alu instid0(VALU_DEP_2) | instskip(SKIP_1) | instid1(VALU_DEP_2)
	v_add_co_u32 v54, vcc_lo, v52, s0
	s_wait_alu 0xfffd
	v_add_co_ci_u32_e32 v55, vcc_lo, s1, v53, vcc_lo
	v_mul_f64_e32 v[8:9], s[2:3], v[8:9]
	v_mul_f64_e32 v[10:11], s[2:3], v[10:11]
	s_wait_loadcnt 0x0
	v_mul_f64_e32 v[16:17], v[104:105], v[58:59]
	v_mul_f64_e32 v[18:19], v[104:105], v[56:57]
	scratch_load_b128 v[104:107], off, off offset:128 th:TH_LOAD_LU ; 16-byte Folded Reload
	;; [unrolled: 15-line block ×3, first 2 shown]
	v_fma_f64 v[16:17], v[104:105], v[60:61], v[20:21]
	v_fma_f64 v[18:19], v[104:105], v[62:63], -v[22:23]
	v_add_co_u32 v60, vcc_lo, v58, s0
	s_wait_alu 0xfffd
	v_add_co_ci_u32_e32 v61, vcc_lo, s1, v59, vcc_lo
	s_delay_alu instid0(VALU_DEP_4) | instskip(NEXT) | instid1(VALU_DEP_4)
	v_mul_f64_e32 v[16:17], s[2:3], v[16:17]
	v_mul_f64_e32 v[18:19], s[2:3], v[18:19]
	s_wait_loadcnt 0x0
	v_mul_f64_e32 v[24:25], v[108:109], v[66:67]
	v_mul_f64_e32 v[26:27], v[108:109], v[64:65]
	scratch_load_b128 v[108:111], off, off offset:164 th:TH_LOAD_LU ; 16-byte Folded Reload
	v_fma_f64 v[20:21], v[106:107], v[64:65], v[24:25]
	v_fma_f64 v[22:23], v[106:107], v[66:67], -v[26:27]
	s_delay_alu instid0(VALU_DEP_2) | instskip(NEXT) | instid1(VALU_DEP_2)
	v_mul_f64_e32 v[20:21], s[2:3], v[20:21]
	v_mul_f64_e32 v[22:23], s[2:3], v[22:23]
	s_wait_loadcnt 0x0
	v_mul_f64_e32 v[28:29], v[110:111], v[70:71]
	v_mul_f64_e32 v[30:31], v[110:111], v[68:69]
	scratch_load_b128 v[110:113], off, off offset:188 th:TH_LOAD_LU ; 16-byte Folded Reload
	v_fma_f64 v[24:25], v[108:109], v[68:69], v[28:29]
	v_fma_f64 v[26:27], v[108:109], v[70:71], -v[30:31]
	s_delay_alu instid0(VALU_DEP_2) | instskip(NEXT) | instid1(VALU_DEP_2)
	v_mul_f64_e32 v[24:25], s[2:3], v[24:25]
	v_mul_f64_e32 v[26:27], s[2:3], v[26:27]
	s_wait_loadcnt 0x0
	v_mul_f64_e32 v[32:33], v[112:113], v[74:75]
	v_mul_f64_e32 v[34:35], v[112:113], v[72:73]
	scratch_load_b128 v[112:115], off, off offset:204 th:TH_LOAD_LU ; 16-byte Folded Reload
	v_fma_f64 v[28:29], v[110:111], v[72:73], v[32:33]
	v_fma_f64 v[30:31], v[110:111], v[74:75], -v[34:35]
	v_fma_f64 v[32:33], v[116:117], v[76:77], v[36:37]
	v_fma_f64 v[34:35], v[116:117], v[78:79], -v[38:39]
	s_delay_alu instid0(VALU_DEP_4) | instskip(NEXT) | instid1(VALU_DEP_4)
	v_mul_f64_e32 v[28:29], s[2:3], v[28:29]
	v_mul_f64_e32 v[30:31], s[2:3], v[30:31]
	s_delay_alu instid0(VALU_DEP_4) | instskip(NEXT) | instid1(VALU_DEP_4)
	v_mul_f64_e32 v[32:33], s[2:3], v[32:33]
	v_mul_f64_e32 v[34:35], s[2:3], v[34:35]
	s_wait_loadcnt 0x0
	v_mul_f64_e32 v[40:41], v[114:115], v[82:83]
	v_mul_f64_e32 v[42:43], v[114:115], v[80:81]
	s_delay_alu instid0(VALU_DEP_2) | instskip(NEXT) | instid1(VALU_DEP_2)
	v_fma_f64 v[36:37], v[112:113], v[80:81], v[40:41]
	v_fma_f64 v[38:39], v[112:113], v[82:83], -v[42:43]
	v_fma_f64 v[40:41], v[118:119], v[84:85], v[88:89]
	v_fma_f64 v[42:43], v[118:119], v[86:87], -v[90:91]
	s_delay_alu instid0(VALU_DEP_4) | instskip(NEXT) | instid1(VALU_DEP_4)
	v_mul_f64_e32 v[36:37], s[2:3], v[36:37]
	v_mul_f64_e32 v[38:39], s[2:3], v[38:39]
	s_delay_alu instid0(VALU_DEP_4) | instskip(NEXT) | instid1(VALU_DEP_4)
	v_mul_f64_e32 v[40:41], s[2:3], v[40:41]
	v_mul_f64_e32 v[42:43], s[2:3], v[42:43]
	s_clause 0x4
	global_store_b128 v[92:93], v[0:3], off
	global_store_b128 v[94:95], v[4:7], off
	;; [unrolled: 1-line block ×11, first 2 shown]
.LBB0_10:
	s_nop 0
	s_sendmsg sendmsg(MSG_DEALLOC_VGPRS)
	s_endpgm
	.section	.rodata,"a",@progbits
	.p2align	6, 0x0
	.amdhsa_kernel bluestein_single_back_len605_dim1_dp_op_CI_CI
		.amdhsa_group_segment_fixed_size 9680
		.amdhsa_private_segment_fixed_size 356
		.amdhsa_kernarg_size 104
		.amdhsa_user_sgpr_count 2
		.amdhsa_user_sgpr_dispatch_ptr 0
		.amdhsa_user_sgpr_queue_ptr 0
		.amdhsa_user_sgpr_kernarg_segment_ptr 1
		.amdhsa_user_sgpr_dispatch_id 0
		.amdhsa_user_sgpr_private_segment_size 0
		.amdhsa_wavefront_size32 1
		.amdhsa_uses_dynamic_stack 0
		.amdhsa_enable_private_segment 1
		.amdhsa_system_sgpr_workgroup_id_x 1
		.amdhsa_system_sgpr_workgroup_id_y 0
		.amdhsa_system_sgpr_workgroup_id_z 0
		.amdhsa_system_sgpr_workgroup_info 0
		.amdhsa_system_vgpr_workitem_id 0
		.amdhsa_next_free_vgpr 256
		.amdhsa_next_free_sgpr 38
		.amdhsa_reserve_vcc 1
		.amdhsa_float_round_mode_32 0
		.amdhsa_float_round_mode_16_64 0
		.amdhsa_float_denorm_mode_32 3
		.amdhsa_float_denorm_mode_16_64 3
		.amdhsa_fp16_overflow 0
		.amdhsa_workgroup_processor_mode 1
		.amdhsa_memory_ordered 1
		.amdhsa_forward_progress 0
		.amdhsa_round_robin_scheduling 0
		.amdhsa_exception_fp_ieee_invalid_op 0
		.amdhsa_exception_fp_denorm_src 0
		.amdhsa_exception_fp_ieee_div_zero 0
		.amdhsa_exception_fp_ieee_overflow 0
		.amdhsa_exception_fp_ieee_underflow 0
		.amdhsa_exception_fp_ieee_inexact 0
		.amdhsa_exception_int_div_zero 0
	.end_amdhsa_kernel
	.text
.Lfunc_end0:
	.size	bluestein_single_back_len605_dim1_dp_op_CI_CI, .Lfunc_end0-bluestein_single_back_len605_dim1_dp_op_CI_CI
                                        ; -- End function
	.section	.AMDGPU.csdata,"",@progbits
; Kernel info:
; codeLenInByte = 17512
; NumSgprs: 40
; NumVgprs: 256
; ScratchSize: 356
; MemoryBound: 0
; FloatMode: 240
; IeeeMode: 1
; LDSByteSize: 9680 bytes/workgroup (compile time only)
; SGPRBlocks: 4
; VGPRBlocks: 31
; NumSGPRsForWavesPerEU: 40
; NumVGPRsForWavesPerEU: 256
; Occupancy: 5
; WaveLimiterHint : 1
; COMPUTE_PGM_RSRC2:SCRATCH_EN: 1
; COMPUTE_PGM_RSRC2:USER_SGPR: 2
; COMPUTE_PGM_RSRC2:TRAP_HANDLER: 0
; COMPUTE_PGM_RSRC2:TGID_X_EN: 1
; COMPUTE_PGM_RSRC2:TGID_Y_EN: 0
; COMPUTE_PGM_RSRC2:TGID_Z_EN: 0
; COMPUTE_PGM_RSRC2:TIDIG_COMP_CNT: 0
	.text
	.p2alignl 7, 3214868480
	.fill 96, 4, 3214868480
	.type	__hip_cuid_252e36228f3b9a82,@object ; @__hip_cuid_252e36228f3b9a82
	.section	.bss,"aw",@nobits
	.globl	__hip_cuid_252e36228f3b9a82
__hip_cuid_252e36228f3b9a82:
	.byte	0                               ; 0x0
	.size	__hip_cuid_252e36228f3b9a82, 1

	.ident	"AMD clang version 19.0.0git (https://github.com/RadeonOpenCompute/llvm-project roc-6.4.0 25133 c7fe45cf4b819c5991fe208aaa96edf142730f1d)"
	.section	".note.GNU-stack","",@progbits
	.addrsig
	.addrsig_sym __hip_cuid_252e36228f3b9a82
	.amdgpu_metadata
---
amdhsa.kernels:
  - .args:
      - .actual_access:  read_only
        .address_space:  global
        .offset:         0
        .size:           8
        .value_kind:     global_buffer
      - .actual_access:  read_only
        .address_space:  global
        .offset:         8
        .size:           8
        .value_kind:     global_buffer
      - .actual_access:  read_only
        .address_space:  global
        .offset:         16
        .size:           8
        .value_kind:     global_buffer
      - .actual_access:  read_only
        .address_space:  global
        .offset:         24
        .size:           8
        .value_kind:     global_buffer
      - .actual_access:  read_only
        .address_space:  global
        .offset:         32
        .size:           8
        .value_kind:     global_buffer
      - .offset:         40
        .size:           8
        .value_kind:     by_value
      - .address_space:  global
        .offset:         48
        .size:           8
        .value_kind:     global_buffer
      - .address_space:  global
        .offset:         56
        .size:           8
        .value_kind:     global_buffer
      - .address_space:  global
        .offset:         64
        .size:           8
        .value_kind:     global_buffer
      - .address_space:  global
        .offset:         72
        .size:           8
        .value_kind:     global_buffer
      - .offset:         80
        .size:           4
        .value_kind:     by_value
      - .address_space:  global
        .offset:         88
        .size:           8
        .value_kind:     global_buffer
      - .address_space:  global
        .offset:         96
        .size:           8
        .value_kind:     global_buffer
    .group_segment_fixed_size: 9680
    .kernarg_segment_align: 8
    .kernarg_segment_size: 104
    .language:       OpenCL C
    .language_version:
      - 2
      - 0
    .max_flat_workgroup_size: 55
    .name:           bluestein_single_back_len605_dim1_dp_op_CI_CI
    .private_segment_fixed_size: 356
    .sgpr_count:     40
    .sgpr_spill_count: 0
    .symbol:         bluestein_single_back_len605_dim1_dp_op_CI_CI.kd
    .uniform_work_group_size: 1
    .uses_dynamic_stack: false
    .vgpr_count:     256
    .vgpr_spill_count: 104
    .wavefront_size: 32
    .workgroup_processor_mode: 1
amdhsa.target:   amdgcn-amd-amdhsa--gfx1201
amdhsa.version:
  - 1
  - 2
...

	.end_amdgpu_metadata
